;; amdgpu-corpus repo=ROCm/rocFFT kind=compiled arch=gfx1030 opt=O3
	.text
	.amdgcn_target "amdgcn-amd-amdhsa--gfx1030"
	.amdhsa_code_object_version 6
	.protected	bluestein_single_back_len720_dim1_half_op_CI_CI ; -- Begin function bluestein_single_back_len720_dim1_half_op_CI_CI
	.globl	bluestein_single_back_len720_dim1_half_op_CI_CI
	.p2align	8
	.type	bluestein_single_back_len720_dim1_half_op_CI_CI,@function
bluestein_single_back_len720_dim1_half_op_CI_CI: ; @bluestein_single_back_len720_dim1_half_op_CI_CI
; %bb.0:
	s_load_dwordx4 s[0:3], s[4:5], 0x28
	v_mul_u32_u24_e32 v1, 0x223, v0
	v_mov_b32_e32 v8, 0
	v_lshrrev_b32_e32 v1, 16, v1
	v_lshl_add_u32 v7, s6, 1, v1
	s_waitcnt lgkmcnt(0)
	v_cmp_gt_u64_e32 vcc_lo, s[0:1], v[7:8]
	s_and_saveexec_b32 s0, vcc_lo
	s_cbranch_execz .LBB0_23
; %bb.1:
	v_mul_lo_u16 v2, 0x78, v1
	s_clause 0x1
	s_load_dwordx2 s[10:11], s[4:5], 0x0
	s_load_dwordx2 s[8:9], s[4:5], 0x38
	v_and_b32_e32 v1, 1, v1
	v_sub_nc_u16 v0, v0, v2
	v_cmp_eq_u32_e32 vcc_lo, 1, v1
	v_and_b32_e32 v28, 0xffff, v0
	v_cndmask_b32_e64 v30, 0, 0x2d0, vcc_lo
	v_cmp_gt_u16_e32 vcc_lo, 0x48, v0
	v_lshlrev_b32_e32 v29, 2, v28
	v_lshlrev_b32_e32 v31, 2, v30
	s_and_saveexec_b32 s1, vcc_lo
	s_cbranch_execz .LBB0_3
; %bb.2:
	s_load_dwordx2 s[6:7], s[4:5], 0x18
	s_waitcnt lgkmcnt(0)
	s_load_dwordx4 s[12:15], s[6:7], 0x0
	s_waitcnt lgkmcnt(0)
	v_mad_u64_u32 v[0:1], null, s14, v7, 0
	v_mad_u64_u32 v[2:3], null, s12, v28, 0
	s_mul_i32 s6, s13, 0x120
	s_mul_hi_u32 s7, s12, 0x120
	s_add_i32 s7, s7, s6
	v_mad_u64_u32 v[4:5], null, s15, v7, v[1:2]
	v_mad_u64_u32 v[5:6], null, s13, v28, v[3:4]
	v_mov_b32_e32 v1, v4
	v_lshlrev_b64 v[0:1], 2, v[0:1]
	v_mov_b32_e32 v3, v5
	v_add_co_u32 v0, s0, s2, v0
	v_lshlrev_b64 v[2:3], 2, v[2:3]
	v_add_co_ci_u32_e64 v1, s0, s3, v1, s0
	s_mul_i32 s2, s12, 0x120
	v_add_co_u32 v0, s0, v0, v2
	v_add_co_ci_u32_e64 v1, s0, v1, v3, s0
	v_add_co_u32 v2, s0, v0, s2
	v_add_co_ci_u32_e64 v3, s0, s7, v1, s0
	;; [unrolled: 2-line block ×3, first 2 shown]
	v_add_co_u32 v6, s0, s10, v29
	v_add_co_ci_u32_e64 v8, null, s11, 0, s0
	global_load_dword v9, v[0:1], off
	global_load_dword v10, v29, s[10:11]
	s_clause 0x1
	global_load_dword v11, v[2:3], off
	global_load_dword v12, v[4:5], off
	v_add_co_u32 v0, s0, v4, s2
	v_add_co_ci_u32_e64 v1, s0, s7, v5, s0
	s_clause 0x6
	global_load_dword v13, v29, s[10:11] offset:288
	global_load_dword v14, v29, s[10:11] offset:576
	;; [unrolled: 1-line block ×7, first 2 shown]
	v_add_co_u32 v2, s0, v0, s2
	v_add_co_ci_u32_e64 v3, s0, s7, v1, s0
	s_clause 0x1
	global_load_dword v20, v[0:1], off
	global_load_dword v21, v[2:3], off
	v_add_co_u32 v0, s0, v2, s2
	v_add_co_ci_u32_e64 v1, s0, s7, v3, s0
	v_add_co_u32 v2, s0, v0, s2
	v_add_co_ci_u32_e64 v3, s0, s7, v1, s0
	global_load_dword v22, v[0:1], off
	v_add_co_u32 v0, s0, v2, s2
	v_add_co_ci_u32_e64 v1, s0, s7, v3, s0
	global_load_dword v23, v[2:3], off
	;; [unrolled: 3-line block ×3, first 2 shown]
	v_add_co_u32 v0, s0, v2, s2
	v_add_co_ci_u32_e64 v1, s0, s7, v3, s0
	v_add_co_u32 v4, s0, 0x800, v6
	v_add_co_ci_u32_e64 v5, s0, 0, v8, s0
	global_load_dword v2, v[2:3], off
	global_load_dword v0, v[0:1], off
	s_clause 0x1
	global_load_dword v1, v[4:5], off offset:256
	global_load_dword v3, v[4:5], off offset:544
	v_lshl_add_u32 v8, v28, 2, v31
	v_add_nc_u32_e32 v5, v31, v29
	v_add_nc_u32_e32 v27, 0x200, v5
	s_waitcnt vmcnt(19)
	v_lshrrev_b32_e32 v4, 16, v9
	s_waitcnt vmcnt(18)
	v_mul_f16_sdwa v6, v10, v9 dst_sel:DWORD dst_unused:UNUSED_PAD src0_sel:WORD_1 src1_sel:DWORD
	s_waitcnt vmcnt(17)
	v_lshrrev_b32_e32 v26, 16, v11
	s_waitcnt vmcnt(14)
	v_mul_f16_sdwa v32, v14, v12 dst_sel:DWORD dst_unused:UNUSED_PAD src0_sel:WORD_1 src1_sel:DWORD
	v_mul_f16_sdwa v25, v10, v4 dst_sel:DWORD dst_unused:UNUSED_PAD src0_sel:WORD_1 src1_sel:DWORD
	v_fma_f16 v4, v10, v4, -v6
	v_mul_f16_sdwa v6, v13, v11 dst_sel:DWORD dst_unused:UNUSED_PAD src0_sel:WORD_1 src1_sel:DWORD
	v_fmac_f16_e32 v25, v10, v9
	v_mul_f16_sdwa v9, v13, v26 dst_sel:DWORD dst_unused:UNUSED_PAD src0_sel:WORD_1 src1_sel:DWORD
	v_lshrrev_b32_e32 v10, 16, v12
	v_fma_f16 v6, v13, v26, -v6
	v_pack_b32_f16 v4, v25, v4
	v_fmac_f16_e32 v9, v13, v11
	v_mul_f16_sdwa v11, v14, v10 dst_sel:DWORD dst_unused:UNUSED_PAD src0_sel:WORD_1 src1_sel:DWORD
	v_fma_f16 v10, v14, v10, -v32
	s_waitcnt vmcnt(8)
	v_lshrrev_b32_e32 v13, 16, v20
	ds_write_b32 v8, v4
	s_waitcnt vmcnt(7)
	v_lshrrev_b32_e32 v8, 16, v21
	v_fmac_f16_e32 v11, v14, v12
	v_mul_f16_sdwa v25, v15, v20 dst_sel:DWORD dst_unused:UNUSED_PAD src0_sel:WORD_1 src1_sel:DWORD
	v_pack_b32_f16 v4, v9, v6
	v_mul_f16_sdwa v6, v15, v13 dst_sel:DWORD dst_unused:UNUSED_PAD src0_sel:WORD_1 src1_sel:DWORD
	v_mul_f16_sdwa v12, v16, v21 dst_sel:DWORD dst_unused:UNUSED_PAD src0_sel:WORD_1 src1_sel:DWORD
	v_pack_b32_f16 v10, v11, v10
	v_mul_f16_sdwa v11, v16, v8 dst_sel:DWORD dst_unused:UNUSED_PAD src0_sel:WORD_1 src1_sel:DWORD
	v_fma_f16 v9, v15, v13, -v25
	v_fmac_f16_e32 v6, v15, v20
	s_waitcnt vmcnt(6)
	v_lshrrev_b32_e32 v13, 16, v22
	v_fma_f16 v8, v16, v8, -v12
	v_mul_f16_sdwa v12, v17, v22 dst_sel:DWORD dst_unused:UNUSED_PAD src0_sel:WORD_1 src1_sel:DWORD
	v_fmac_f16_e32 v11, v16, v21
	s_waitcnt vmcnt(5)
	v_lshrrev_b32_e32 v14, 16, v23
	v_pack_b32_f16 v6, v6, v9
	v_mul_f16_sdwa v9, v17, v13 dst_sel:DWORD dst_unused:UNUSED_PAD src0_sel:WORD_1 src1_sel:DWORD
	v_fma_f16 v12, v17, v13, -v12
	v_mul_f16_sdwa v13, v18, v23 dst_sel:DWORD dst_unused:UNUSED_PAD src0_sel:WORD_1 src1_sel:DWORD
	v_pack_b32_f16 v8, v11, v8
	v_mul_f16_sdwa v11, v18, v14 dst_sel:DWORD dst_unused:UNUSED_PAD src0_sel:WORD_1 src1_sel:DWORD
	v_fmac_f16_e32 v9, v17, v22
	s_waitcnt vmcnt(4)
	v_lshrrev_b32_e32 v15, 16, v24
	v_fma_f16 v13, v18, v14, -v13
	v_mul_f16_sdwa v14, v19, v24 dst_sel:DWORD dst_unused:UNUSED_PAD src0_sel:WORD_1 src1_sel:DWORD
	v_fmac_f16_e32 v11, v18, v23
	s_waitcnt vmcnt(3)
	v_lshrrev_b32_e32 v16, 16, v2
	s_waitcnt vmcnt(2)
	v_lshrrev_b32_e32 v17, 16, v0
	v_pack_b32_f16 v9, v9, v12
	v_mul_f16_sdwa v12, v19, v15 dst_sel:DWORD dst_unused:UNUSED_PAD src0_sel:WORD_1 src1_sel:DWORD
	v_fma_f16 v14, v19, v15, -v14
	s_waitcnt vmcnt(1)
	v_mul_f16_sdwa v15, v1, v2 dst_sel:DWORD dst_unused:UNUSED_PAD src0_sel:WORD_1 src1_sel:DWORD
	v_pack_b32_f16 v11, v11, v13
	v_mul_f16_sdwa v13, v1, v16 dst_sel:DWORD dst_unused:UNUSED_PAD src0_sel:WORD_1 src1_sel:DWORD
	s_waitcnt vmcnt(0)
	v_mul_f16_sdwa v18, v3, v17 dst_sel:DWORD dst_unused:UNUSED_PAD src0_sel:WORD_1 src1_sel:DWORD
	v_mul_f16_sdwa v20, v3, v0 dst_sel:DWORD dst_unused:UNUSED_PAD src0_sel:WORD_1 src1_sel:DWORD
	v_fmac_f16_e32 v12, v19, v24
	v_fma_f16 v15, v1, v16, -v15
	v_fmac_f16_e32 v13, v1, v2
	v_fmac_f16_e32 v18, v3, v0
	v_fma_f16 v0, v3, v17, -v20
	v_add_nc_u32_e32 v1, 0x400, v5
	v_pack_b32_f16 v2, v12, v14
	v_pack_b32_f16 v3, v13, v15
	v_add_nc_u32_e32 v12, 0x600, v5
	v_pack_b32_f16 v0, v18, v0
	ds_write2_b32 v5, v4, v10 offset0:72 offset1:144
	ds_write2_b32 v27, v6, v8 offset0:88 offset1:160
	;; [unrolled: 1-line block ×4, first 2 shown]
	ds_write_b32 v5, v0 offset:2592
.LBB0_3:
	s_or_b32 exec_lo, exec_lo, s1
	s_clause 0x1
	s_load_dwordx2 s[0:1], s[4:5], 0x20
	s_load_dwordx2 s[2:3], s[4:5], 0x8
	s_waitcnt lgkmcnt(0)
	s_barrier
	buffer_gl0_inv
                                        ; implicit-def: $vgpr1
                                        ; implicit-def: $vgpr3
                                        ; implicit-def: $vgpr5
                                        ; implicit-def: $vgpr11
                                        ; implicit-def: $vgpr9
                                        ; kill: def $vgpr0 killed $sgpr0 killed $exec
	s_and_saveexec_b32 s4, vcc_lo
	s_cbranch_execz .LBB0_5
; %bb.4:
	v_lshl_add_u32 v0, v30, 2, v29
	v_add_nc_u32_e32 v1, 0x400, v0
	v_add_nc_u32_e32 v6, 0x800, v0
	ds_read2_b32 v[8:9], v0 offset1:72
	ds_read2_b32 v[10:11], v0 offset0:144 offset1:216
	ds_read2_b32 v[4:5], v1 offset0:32 offset1:104
	ds_read2_b32 v[2:3], v1 offset0:176 offset1:248
	ds_read2_b32 v[0:1], v6 offset0:64 offset1:136
.LBB0_5:
	s_or_b32 exec_lo, exec_lo, s4
	s_waitcnt lgkmcnt(1)
	v_add_f16_e32 v6, v2, v4
	s_waitcnt lgkmcnt(0)
	v_sub_f16_sdwa v12, v10, v0 dst_sel:DWORD dst_unused:UNUSED_PAD src0_sel:WORD_1 src1_sel:WORD_1
	v_sub_f16_sdwa v13, v4, v2 dst_sel:DWORD dst_unused:UNUSED_PAD src0_sel:WORD_1 src1_sel:WORD_1
	v_sub_f16_e32 v16, v10, v4
	v_sub_f16_e32 v17, v0, v2
	v_fma_f16 v6, -0.5, v6, v8
	v_add_f16_e32 v15, v0, v10
	v_sub_f16_e32 v19, v4, v10
	v_sub_f16_e32 v22, v2, v0
	v_add_f16_sdwa v21, v2, v4 dst_sel:DWORD dst_unused:UNUSED_PAD src0_sel:WORD_1 src1_sel:WORD_1
	v_fmamk_f16 v14, v12, 0x3b9c, v6
	v_fmac_f16_e32 v6, 0xbb9c, v12
	v_fma_f16 v15, -0.5, v15, v8
	v_lshrrev_b32_e32 v20, 16, v8
	v_add_f16_e32 v16, v17, v16
	v_fmac_f16_e32 v14, 0x38b4, v13
	v_fmac_f16_e32 v6, 0xb8b4, v13
	v_add_f16_sdwa v23, v0, v10 dst_sel:DWORD dst_unused:UNUSED_PAD src0_sel:WORD_1 src1_sel:WORD_1
	v_fmamk_f16 v18, v13, 0xbb9c, v15
	v_fma_f16 v21, -0.5, v21, v20
	v_fmac_f16_e32 v14, 0x34f2, v16
	v_fmac_f16_e32 v6, 0x34f2, v16
	v_add_f16_e32 v16, v22, v19
	v_fmac_f16_e32 v15, 0x3b9c, v13
	v_sub_f16_e32 v13, v4, v2
	v_sub_f16_sdwa v22, v10, v4 dst_sel:DWORD dst_unused:UNUSED_PAD src0_sel:WORD_1 src1_sel:WORD_1
	v_sub_f16_sdwa v24, v0, v2 dst_sel:DWORD dst_unused:UNUSED_PAD src0_sel:WORD_1 src1_sel:WORD_1
	v_fmac_f16_e32 v20, -0.5, v23
	v_sub_f16_e32 v17, v10, v0
	v_fmac_f16_e32 v18, 0x38b4, v12
	v_fmac_f16_e32 v15, 0xb8b4, v12
	v_add_f16_e32 v12, v24, v22
	v_fmamk_f16 v22, v13, 0x3b9c, v20
	v_sub_f16_sdwa v24, v4, v10 dst_sel:DWORD dst_unused:UNUSED_PAD src0_sel:WORD_1 src1_sel:WORD_1
	v_sub_f16_sdwa v25, v2, v0 dst_sel:DWORD dst_unused:UNUSED_PAD src0_sel:WORD_1 src1_sel:WORD_1
	v_fmac_f16_e32 v20, 0xbb9c, v13
	v_sub_f16_e32 v27, v11, v5
	v_fmac_f16_e32 v22, 0xb8b4, v17
	v_sub_f16_e32 v32, v1, v3
	v_add_f16_e32 v24, v25, v24
	v_fmac_f16_e32 v20, 0x38b4, v17
	v_fmamk_f16 v19, v17, 0xbb9c, v21
	v_fmac_f16_e32 v21, 0x3b9c, v17
	v_add_f16_e32 v23, v3, v5
	v_add_f16_e32 v17, v32, v27
	v_fmac_f16_e32 v22, 0x34f2, v24
	v_fmac_f16_e32 v20, 0x34f2, v24
	v_sub_f16_e32 v24, v5, v11
	v_sub_f16_e32 v27, v3, v1
	v_fmac_f16_e32 v18, 0x34f2, v16
	v_fmac_f16_e32 v15, 0x34f2, v16
	v_fma_f16 v16, -0.5, v23, v9
	v_sub_f16_sdwa v23, v11, v1 dst_sel:DWORD dst_unused:UNUSED_PAD src0_sel:WORD_1 src1_sel:WORD_1
	v_add_f16_e32 v33, v1, v11
	v_add_f16_sdwa v32, v3, v5 dst_sel:DWORD dst_unused:UNUSED_PAD src0_sel:WORD_1 src1_sel:WORD_1
	v_lshrrev_b32_e32 v34, 16, v9
	v_add_f16_e32 v24, v27, v24
	v_add_f16_sdwa v27, v1, v11 dst_sel:DWORD dst_unused:UNUSED_PAD src0_sel:WORD_1 src1_sel:WORD_1
	v_fmac_f16_e32 v19, 0xb8b4, v13
	v_fmac_f16_e32 v21, 0x38b4, v13
	v_fmamk_f16 v13, v23, 0x3b9c, v16
	v_sub_f16_sdwa v26, v5, v3 dst_sel:DWORD dst_unused:UNUSED_PAD src0_sel:WORD_1 src1_sel:WORD_1
	v_fma_f16 v25, -0.5, v33, v9
	v_fmac_f16_e32 v16, 0xbb9c, v23
	v_fma_f16 v35, -0.5, v32, v34
	v_sub_f16_e32 v32, v11, v1
	v_sub_f16_e32 v33, v5, v3
	v_fmac_f16_e32 v34, -0.5, v27
	v_fmac_f16_e32 v19, 0x34f2, v12
	v_fmac_f16_e32 v13, 0x38b4, v26
	;; [unrolled: 1-line block ×3, first 2 shown]
	v_fmamk_f16 v12, v26, 0xbb9c, v25
	v_fmac_f16_e32 v16, 0xb8b4, v26
	v_fmac_f16_e32 v25, 0x3b9c, v26
	v_fmamk_f16 v36, v32, 0xbb9c, v35
	v_sub_f16_sdwa v26, v11, v5 dst_sel:DWORD dst_unused:UNUSED_PAD src0_sel:WORD_1 src1_sel:WORD_1
	v_sub_f16_sdwa v27, v1, v3 dst_sel:DWORD dst_unused:UNUSED_PAD src0_sel:WORD_1 src1_sel:WORD_1
	v_fmamk_f16 v37, v33, 0x3b9c, v34
	v_sub_f16_sdwa v38, v5, v11 dst_sel:DWORD dst_unused:UNUSED_PAD src0_sel:WORD_1 src1_sel:WORD_1
	v_sub_f16_sdwa v39, v3, v1 dst_sel:DWORD dst_unused:UNUSED_PAD src0_sel:WORD_1 src1_sel:WORD_1
	v_fmac_f16_e32 v36, 0xb8b4, v33
	v_add_f16_e32 v27, v27, v26
	v_fmac_f16_e32 v34, 0xbb9c, v33
	v_fmac_f16_e32 v37, 0xb8b4, v32
	v_add_f16_e32 v26, v39, v38
	v_fmac_f16_e32 v35, 0x3b9c, v32
	v_fmac_f16_e32 v12, 0x38b4, v23
	;; [unrolled: 1-line block ×11, first 2 shown]
	v_mul_f16_e32 v23, 0x38b4, v36
	v_mul_f16_e32 v26, 0x3b9c, v37
	v_fmac_f16_e32 v16, 0x34f2, v17
	v_fmac_f16_e32 v35, 0x34f2, v27
	v_mul_f16_e32 v24, 0x34f2, v25
	v_fmac_f16_e32 v23, 0x3a79, v13
	v_fmac_f16_e32 v26, 0x34f2, v12
	v_mul_f16_e32 v17, 0x3a79, v16
	v_mul_f16_e32 v32, 0xb8b4, v13
	;; [unrolled: 1-line block ×5, first 2 shown]
	v_fma_f16 v27, v34, 0x3b9c, -v24
	v_fma_f16 v34, v35, 0x38b4, -v17
	v_fmac_f16_e32 v32, 0x3a79, v36
	v_fmac_f16_e32 v33, 0x34f2, v37
	v_fma_f16 v35, v25, 0xbb9c, -v12
	v_fma_f16 v37, v16, 0xb8b4, -v13
	v_sub_f16_e32 v16, v14, v23
	v_sub_f16_e32 v17, v18, v26
	;; [unrolled: 1-line block ×8, first 2 shown]
	v_mul_lo_u16 v36, v28, 10
	s_barrier
	buffer_gl0_inv
	s_and_saveexec_b32 s4, vcc_lo
	s_cbranch_execz .LBB0_7
; %bb.6:
	v_pk_add_f16 v8, v10, v8
	v_pk_add_f16 v9, v11, v9
	v_add_f16_e32 v11, v20, v35
	v_add_f16_e32 v10, v21, v37
	;; [unrolled: 1-line block ×3, first 2 shown]
	v_pk_add_f16 v4, v4, v8
	v_pk_add_f16 v5, v5, v9
	v_add_f16_e32 v8, v22, v33
	v_add_f16_e32 v9, v19, v32
	v_pk_add_f16 v2, v2, v4
	v_pk_add_f16 v3, v3, v5
	v_add_f16_e32 v4, v15, v27
	v_and_b32_e32 v5, 0xffff, v36
	v_add_f16_e32 v15, v18, v26
	v_pk_add_f16 v18, v0, v2
	v_pk_add_f16 v19, v1, v3
	v_add_f16_e32 v3, v14, v23
	v_add_lshl_u32 v14, v30, v5, 2
	v_pack_b32_f16 v1, v4, v11
	v_pack_b32_f16 v0, v15, v8
	v_pk_add_f16 v2, v19, v18
	v_pack_b32_f16 v3, v3, v9
	v_pk_add_f16 v5, v18, v19 neg_lo:[0,1] neg_hi:[0,1]
	v_perm_b32 v9, v25, v17, 0x5040100
	v_perm_b32 v8, v24, v16, 0x5040100
	v_pack_b32_f16 v4, v6, v10
	v_perm_b32 v11, v39, v13, 0x5040100
	v_perm_b32 v10, v40, v12, 0x5040100
	ds_write2_b64 v14, v[2:3], v[0:1] offset1:1
	ds_write2_b64 v14, v[4:5], v[8:9] offset0:2 offset1:3
	ds_write_b64 v14, v[10:11] offset:32
.LBB0_7:
	s_or_b32 exec_lo, exec_lo, s4
	v_and_b32_e32 v0, 0xff, v28
	v_add_co_u32 v14, s4, 0x78, v28
	v_add_co_ci_u32_e64 v15, null, 0, 0, s4
	v_mul_lo_u16 v1, 0xcd, v0
	v_and_b32_e32 v2, 0xff, v14
	s_load_dwordx4 s[4:7], s[0:1], 0x0
	s_waitcnt lgkmcnt(0)
	s_barrier
	v_lshrrev_b16 v6, 11, v1
	v_mul_lo_u16 v1, 0xcd, v2
	buffer_gl0_inv
	v_add_lshl_u32 v33, v30, v28, 2
	v_mov_b32_e32 v23, 30
	v_mul_lo_u16 v2, v6, 10
	v_lshrrev_b16 v20, 11, v1
	v_mov_b32_e32 v1, 3
	v_add_nc_u32_e32 v4, 0x600, v33
	v_mul_u32_u24_sdwa v6, v6, v23 dst_sel:DWORD dst_unused:UNUSED_PAD src0_sel:WORD_0 src1_sel:DWORD
	v_sub_nc_u16 v21, v28, v2
	v_mul_lo_u16 v2, v20, 10
	v_mul_u32_u24_sdwa v20, v20, v23 dst_sel:DWORD dst_unused:UNUSED_PAD src0_sel:WORD_0 src1_sel:DWORD
	v_cmp_gt_u16_e64 s0, 0x5a, v28
	v_lshlrev_b32_sdwa v3, v1, v21 dst_sel:DWORD dst_unused:UNUSED_PAD src0_sel:DWORD src1_sel:BYTE_0
	v_sub_nc_u16 v22, v14, v2
	v_add_nc_u32_sdwa v6, v6, v21 dst_sel:DWORD dst_unused:UNUSED_PAD src0_sel:DWORD src1_sel:BYTE_0
	global_load_dwordx2 v[8:9], v3, s[2:3]
	v_lshlrev_b32_sdwa v1, v1, v22 dst_sel:DWORD dst_unused:UNUSED_PAD src0_sel:DWORD src1_sel:BYTE_0
	v_add_lshl_u32 v37, v30, v6, 2
	v_add_nc_u32_sdwa v6, v20, v22 dst_sel:DWORD dst_unused:UNUSED_PAD src0_sel:DWORD src1_sel:BYTE_0
	global_load_dwordx2 v[10:11], v1, s[2:3]
	v_add_nc_u32_e32 v1, 0x200, v33
	v_add_lshl_u32 v38, v30, v6, 2
	ds_read2_b32 v[18:19], v33 offset1:120
	ds_read2_b32 v[2:3], v1 offset0:112 offset1:232
	ds_read2_b32 v[4:5], v4 offset0:96 offset1:216
	s_waitcnt vmcnt(0) lgkmcnt(0)
	s_barrier
	buffer_gl0_inv
	v_lshrrev_b32_e32 v27, 16, v18
	v_lshrrev_b32_e32 v21, 16, v2
	;; [unrolled: 1-line block ×6, first 2 shown]
	v_mul_f16_sdwa v20, v21, v8 dst_sel:DWORD dst_unused:UNUSED_PAD src0_sel:DWORD src1_sel:WORD_1
	v_mul_f16_sdwa v22, v2, v8 dst_sel:DWORD dst_unused:UNUSED_PAD src0_sel:DWORD src1_sel:WORD_1
	;; [unrolled: 1-line block ×4, first 2 shown]
	v_fma_f16 v2, v2, v8, -v20
	v_fmac_f16_e32 v22, v21, v8
	v_fma_f16 v4, v4, v9, -v35
	v_mul_f16_sdwa v20, v32, v10 dst_sel:DWORD dst_unused:UNUSED_PAD src0_sel:DWORD src1_sel:WORD_1
	v_mul_f16_sdwa v21, v3, v10 dst_sel:DWORD dst_unused:UNUSED_PAD src0_sel:DWORD src1_sel:WORD_1
	;; [unrolled: 1-line block ×4, first 2 shown]
	v_fmac_f16_e32 v6, v23, v9
	v_fma_f16 v3, v3, v10, -v20
	v_fmac_f16_e32 v21, v32, v10
	v_fma_f16 v5, v5, v11, -v35
	v_fmac_f16_e32 v42, v34, v11
	v_add_f16_e32 v32, v27, v22
	v_add_f16_e32 v23, v2, v4
	;; [unrolled: 1-line block ×4, first 2 shown]
	v_sub_f16_e32 v34, v22, v6
	v_add_f16_e32 v32, v32, v6
	v_add_f16_e32 v6, v3, v5
	;; [unrolled: 1-line block ×3, first 2 shown]
	v_sub_f16_e32 v2, v2, v4
	v_fma_f16 v22, -0.5, v23, v18
	v_fmac_f16_e32 v27, -0.5, v35
	v_add_f16_e32 v20, v20, v4
	v_add_f16_e32 v4, v19, v3
	v_sub_f16_e32 v35, v21, v42
	v_add_f16_e32 v18, v26, v21
	v_sub_f16_e32 v3, v3, v5
	v_fmac_f16_e32 v19, -0.5, v6
	v_fmac_f16_e32 v26, -0.5, v43
	v_fmamk_f16 v21, v34, 0x3aee, v22
	v_fmamk_f16 v41, v2, 0xbaee, v27
	v_fmac_f16_e32 v22, 0xbaee, v34
	v_fmac_f16_e32 v27, 0x3aee, v2
	v_add_f16_e32 v23, v4, v5
	v_add_f16_e32 v42, v18, v42
	v_fmamk_f16 v18, v35, 0x3aee, v19
	v_fmamk_f16 v43, v3, 0xbaee, v26
	v_fmac_f16_e32 v19, 0xbaee, v35
	v_fmac_f16_e32 v26, 0x3aee, v3
	v_pack_b32_f16 v2, v20, v32
	v_pack_b32_f16 v3, v21, v41
	;; [unrolled: 1-line block ×6, first 2 shown]
	ds_write2_b32 v37, v2, v3 offset1:10
	ds_write_b32 v37, v4 offset:80
	ds_write2_b32 v38, v5, v6 offset1:10
	ds_write_b32 v38, v34 offset:80
	s_waitcnt lgkmcnt(0)
	s_barrier
	buffer_gl0_inv
	s_and_saveexec_b32 s1, s0
	s_cbranch_execz .LBB0_9
; %bb.8:
	v_add_nc_u32_e32 v2, 0x400, v33
	v_add_nc_u32_e32 v3, 0x800, v33
	ds_read2_b32 v[20:21], v33 offset1:90
	ds_read2_b32 v[22:23], v1 offset0:52 offset1:142
	ds_read2_b32 v[18:19], v2 offset0:104 offset1:194
	;; [unrolled: 1-line block ×3, first 2 shown]
	s_waitcnt lgkmcnt(3)
	v_lshrrev_b32_e32 v32, 16, v20
	v_lshrrev_b32_e32 v41, 16, v21
	s_waitcnt lgkmcnt(2)
	v_lshrrev_b32_e32 v27, 16, v22
	v_lshrrev_b32_e32 v42, 16, v23
	;; [unrolled: 3-line block ×4, first 2 shown]
.LBB0_9:
	s_or_b32 exec_lo, exec_lo, s1
	v_mul_lo_u16 v0, 0x89, v0
	v_lshrrev_b16 v35, 12, v0
	v_mul_lo_u16 v0, v35, 30
	v_sub_nc_u16 v0, v28, v0
	v_and_b32_e32 v34, 0xff, v0
	v_mad_u64_u32 v[4:5], null, v34, 28, s[2:3]
	s_clause 0x1
	global_load_dwordx4 v[0:3], v[4:5], off offset:80
	global_load_dwordx3 v[4:6], v[4:5], off offset:96
	s_waitcnt vmcnt(0)
	s_barrier
	buffer_gl0_inv
	v_mul_f16_sdwa v44, v41, v0 dst_sel:DWORD dst_unused:UNUSED_PAD src0_sel:DWORD src1_sel:WORD_1
	v_mul_f16_sdwa v45, v21, v0 dst_sel:DWORD dst_unused:UNUSED_PAD src0_sel:DWORD src1_sel:WORD_1
	v_mul_f16_sdwa v46, v27, v1 dst_sel:DWORD dst_unused:UNUSED_PAD src0_sel:DWORD src1_sel:WORD_1
	v_mul_f16_sdwa v47, v22, v1 dst_sel:DWORD dst_unused:UNUSED_PAD src0_sel:DWORD src1_sel:WORD_1
	v_mul_f16_sdwa v48, v42, v2 dst_sel:DWORD dst_unused:UNUSED_PAD src0_sel:DWORD src1_sel:WORD_1
	v_mul_f16_sdwa v49, v23, v2 dst_sel:DWORD dst_unused:UNUSED_PAD src0_sel:DWORD src1_sel:WORD_1
	v_mul_f16_sdwa v50, v43, v3 dst_sel:DWORD dst_unused:UNUSED_PAD src0_sel:DWORD src1_sel:WORD_1
	v_mul_f16_sdwa v51, v18, v3 dst_sel:DWORD dst_unused:UNUSED_PAD src0_sel:DWORD src1_sel:WORD_1
	v_mul_f16_sdwa v52, v26, v4 dst_sel:DWORD dst_unused:UNUSED_PAD src0_sel:DWORD src1_sel:WORD_1
	v_mul_f16_sdwa v53, v19, v4 dst_sel:DWORD dst_unused:UNUSED_PAD src0_sel:DWORD src1_sel:WORD_1
	v_mul_f16_sdwa v54, v24, v5 dst_sel:DWORD dst_unused:UNUSED_PAD src0_sel:DWORD src1_sel:WORD_1
	v_mul_f16_sdwa v55, v16, v5 dst_sel:DWORD dst_unused:UNUSED_PAD src0_sel:DWORD src1_sel:WORD_1
	v_mul_f16_sdwa v56, v25, v6 dst_sel:DWORD dst_unused:UNUSED_PAD src0_sel:DWORD src1_sel:WORD_1
	v_mul_f16_sdwa v57, v17, v6 dst_sel:DWORD dst_unused:UNUSED_PAD src0_sel:DWORD src1_sel:WORD_1
	v_fma_f16 v21, v21, v0, -v44
	v_fmac_f16_e32 v45, v41, v0
	v_fma_f16 v41, v22, v1, -v46
	v_fmac_f16_e32 v47, v27, v1
	;; [unrolled: 2-line block ×7, first 2 shown]
	v_sub_f16_e32 v24, v20, v18
	v_sub_f16_e32 v17, v32, v51
	;; [unrolled: 1-line block ×8, first 2 shown]
	v_fma_f16 v23, v20, 2.0, -v24
	v_fma_f16 v22, v32, 2.0, -v17
	;; [unrolled: 1-line block ×8, first 2 shown]
	v_sub_f16_e32 v45, v24, v18
	v_add_f16_e32 v16, v17, v16
	v_sub_f16_e32 v47, v27, v42
	v_add_f16_e32 v46, v26, v19
	v_sub_f16_e32 v41, v23, v32
	v_sub_f16_e32 v21, v22, v43
	;; [unrolled: 1-line block ×4, first 2 shown]
	v_fmamk_f16 v19, v47, 0x39a8, v45
	v_fmamk_f16 v42, v46, 0x39a8, v16
	v_sub_f16_e32 v18, v41, v32
	v_add_f16_e32 v43, v21, v44
	v_fmac_f16_e32 v19, 0xb9a8, v46
	v_fmac_f16_e32 v42, 0x39a8, v47
	s_and_saveexec_b32 s1, s0
	s_cbranch_execz .LBB0_11
; %bb.10:
	v_fma_f16 v24, v24, 2.0, -v45
	v_fma_f16 v27, v27, 2.0, -v47
	;; [unrolled: 1-line block ×6, first 2 shown]
	v_fmamk_f16 v46, v27, 0xb9a8, v24
	v_fma_f16 v25, v25, 2.0, -v44
	v_fma_f16 v22, v22, 2.0, -v21
	v_mov_b32_e32 v41, 0xf0
	v_fma_f16 v20, v20, 2.0, -v32
	v_fmamk_f16 v32, v26, 0xb9a8, v17
	v_fmac_f16_e32 v46, 0xb9a8, v26
	v_sub_f16_e32 v25, v23, v25
	v_mul_u32_u24_sdwa v26, v35, v41 dst_sel:DWORD dst_unused:UNUSED_PAD src0_sel:WORD_0 src1_sel:DWORD
	v_sub_f16_e32 v20, v22, v20
	v_fmac_f16_e32 v32, 0x39a8, v27
	v_fma_f16 v24, v24, 2.0, -v46
	v_fma_f16 v23, v23, 2.0, -v25
	v_add_nc_u32_e32 v26, v26, v34
	v_fma_f16 v22, v22, 2.0, -v20
	v_fma_f16 v17, v17, 2.0, -v32
	;; [unrolled: 1-line block ×5, first 2 shown]
	v_add_lshl_u32 v26, v30, v26, 2
	v_pack_b32_f16 v22, v23, v22
	v_pack_b32_f16 v17, v24, v17
	;; [unrolled: 1-line block ×6, first 2 shown]
	v_perm_b32 v24, v43, v18, 0x5040100
	v_perm_b32 v25, v42, v19, 0x5040100
	ds_write2_b32 v26, v22, v17 offset1:30
	ds_write2_b32 v26, v21, v16 offset0:60 offset1:90
	ds_write2_b32 v26, v20, v23 offset0:120 offset1:150
	;; [unrolled: 1-line block ×3, first 2 shown]
.LBB0_11:
	s_or_b32 exec_lo, exec_lo, s1
	v_lshlrev_b64 v[16:17], 3, v[14:15]
	v_lshlrev_b32_e32 v20, 3, v28
	s_waitcnt lgkmcnt(0)
	s_barrier
	buffer_gl0_inv
	v_add_nc_u32_e32 v24, 0x600, v33
	v_add_co_u32 v16, s1, s2, v16
	global_load_dwordx2 v[14:15], v20, s[2:3] offset:920
	v_add_co_ci_u32_e64 v17, s1, s3, v17, s1
	v_lshl_add_u32 v32, v28, 2, v31
	v_add_nc_u32_e32 v41, v29, v31
	global_load_dwordx2 v[16:17], v[16:17], off offset:920
	v_add_nc_u32_e32 v20, 0x200, v33
	v_add_nc_u32_e32 v26, 0x3c0, v32
	;; [unrolled: 1-line block ×3, first 2 shown]
	ds_read2_b32 v[22:23], v20 offset0:112 offset1:232
	ds_read2_b32 v[20:21], v33 offset1:120
	ds_read2_b32 v[24:25], v24 offset0:96 offset1:216
	s_waitcnt lgkmcnt(2)
	v_lshrrev_b32_e32 v46, 16, v22
	v_lshrrev_b32_e32 v48, 16, v23
	s_waitcnt lgkmcnt(0)
	v_lshrrev_b32_e32 v47, 16, v24
	v_lshrrev_b32_e32 v53, 16, v25
	;; [unrolled: 1-line block ×4, first 2 shown]
	s_waitcnt vmcnt(1)
	v_mul_f16_sdwa v49, v46, v14 dst_sel:DWORD dst_unused:UNUSED_PAD src0_sel:DWORD src1_sel:WORD_1
	v_mul_f16_sdwa v50, v22, v14 dst_sel:DWORD dst_unused:UNUSED_PAD src0_sel:DWORD src1_sel:WORD_1
	;; [unrolled: 1-line block ×4, first 2 shown]
	v_fma_f16 v22, v22, v14, -v49
	v_fmac_f16_e32 v50, v46, v14
	v_fma_f16 v24, v24, v15, -v51
	v_fmac_f16_e32 v52, v47, v15
	s_waitcnt vmcnt(0)
	v_mul_f16_sdwa v46, v48, v16 dst_sel:DWORD dst_unused:UNUSED_PAD src0_sel:DWORD src1_sel:WORD_1
	v_mul_f16_sdwa v47, v23, v16 dst_sel:DWORD dst_unused:UNUSED_PAD src0_sel:DWORD src1_sel:WORD_1
	;; [unrolled: 1-line block ×4, first 2 shown]
	v_add_f16_e32 v57, v45, v50
	v_fma_f16 v23, v23, v16, -v46
	v_fmac_f16_e32 v47, v48, v16
	v_fma_f16 v25, v25, v17, -v49
	v_fmac_f16_e32 v51, v53, v17
	v_add_f16_e32 v54, v20, v22
	v_add_f16_e32 v55, v22, v24
	v_sub_f16_e32 v56, v50, v52
	v_add_f16_e32 v50, v50, v52
	v_add_f16_e32 v46, v57, v52
	;; [unrolled: 1-line block ×4, first 2 shown]
	v_sub_f16_e32 v58, v22, v24
	v_add_f16_e32 v22, v54, v24
	v_fma_f16 v24, -0.5, v55, v20
	v_fmac_f16_e32 v45, -0.5, v50
	v_add_f16_e32 v20, v21, v23
	v_add_f16_e32 v50, v44, v47
	v_sub_f16_e32 v49, v47, v51
	v_sub_f16_e32 v53, v23, v25
	v_fmac_f16_e32 v21, -0.5, v48
	v_fmac_f16_e32 v44, -0.5, v52
	v_fmamk_f16 v23, v56, 0x3aee, v24
	v_fmac_f16_e32 v24, 0xbaee, v56
	v_fmamk_f16 v47, v58, 0xbaee, v45
	v_fmac_f16_e32 v45, 0x3aee, v58
	v_add_f16_e32 v25, v20, v25
	v_add_f16_e32 v48, v50, v51
	v_fmamk_f16 v20, v49, 0x3aee, v21
	v_fmac_f16_e32 v21, 0xbaee, v49
	v_fmamk_f16 v49, v53, 0xbaee, v44
	v_fmac_f16_e32 v44, 0x3aee, v53
	v_pack_b32_f16 v50, v23, v47
	v_pack_b32_f16 v51, v24, v45
	;; [unrolled: 1-line block ×6, first 2 shown]
	ds_write2_b32 v26, v50, v51 offset1:240
	ds_write2_b32 v32, v54, v52 offset1:120
	ds_write2_b32 v27, v53, v55 offset0:8 offset1:248
	s_waitcnt lgkmcnt(0)
	s_barrier
	buffer_gl0_inv
	s_and_saveexec_b32 s2, vcc_lo
	s_cbranch_execz .LBB0_13
; %bb.12:
	v_add_co_u32 v52, s1, s10, v29
	v_add_co_ci_u32_e64 v53, null, s11, 0, s1
	v_add_nc_u32_e32 v68, 0x400, v32
	v_add_co_u32 v26, s1, 0x800, v52
	v_add_co_ci_u32_e64 v27, s1, 0, v53, s1
	v_add_co_u32 v50, s1, 0xb40, v52
	v_add_co_ci_u32_e64 v51, s1, 0, v53, s1
	v_add_nc_u32_e32 v69, 0x800, v32
	s_clause 0x5
	global_load_dword v58, v[26:27], off offset:832
	global_load_dword v59, v[50:51], off offset:288
	;; [unrolled: 1-line block ×6, first 2 shown]
	v_add_co_u32 v26, s1, 0x1000, v52
	v_add_co_ci_u32_e64 v27, s1, 0, v53, s1
	s_clause 0x3
	global_load_dword v64, v[50:51], off offset:1728
	global_load_dword v65, v[50:51], off offset:2016
	;; [unrolled: 1-line block ×4, first 2 shown]
	ds_read2_b32 v[26:27], v32 offset1:72
	ds_read2_b32 v[50:51], v32 offset0:144 offset1:216
	ds_read2_b32 v[52:53], v68 offset0:32 offset1:104
	;; [unrolled: 1-line block ×4, first 2 shown]
	s_waitcnt lgkmcnt(2)
	v_lshrrev_b32_e32 v74, 16, v52
	v_lshrrev_b32_e32 v70, 16, v26
	;; [unrolled: 1-line block ×6, first 2 shown]
	s_waitcnt lgkmcnt(1)
	v_lshrrev_b32_e32 v76, 16, v54
	v_lshrrev_b32_e32 v77, 16, v55
	s_waitcnt lgkmcnt(0)
	v_lshrrev_b32_e32 v78, 16, v56
	v_lshrrev_b32_e32 v79, 16, v57
	s_waitcnt vmcnt(9)
	v_mul_f16_sdwa v80, v70, v58 dst_sel:DWORD dst_unused:UNUSED_PAD src0_sel:DWORD src1_sel:WORD_1
	v_mul_f16_sdwa v81, v26, v58 dst_sel:DWORD dst_unused:UNUSED_PAD src0_sel:DWORD src1_sel:WORD_1
	s_waitcnt vmcnt(8)
	v_mul_f16_sdwa v82, v71, v59 dst_sel:DWORD dst_unused:UNUSED_PAD src0_sel:DWORD src1_sel:WORD_1
	v_mul_f16_sdwa v83, v27, v59 dst_sel:DWORD dst_unused:UNUSED_PAD src0_sel:DWORD src1_sel:WORD_1
	;; [unrolled: 3-line block ×10, first 2 shown]
	v_fma_f16 v26, v26, v58, -v80
	v_fmac_f16_e32 v81, v70, v58
	v_fma_f16 v27, v27, v59, -v82
	v_fmac_f16_e32 v83, v71, v59
	;; [unrolled: 2-line block ×10, first 2 shown]
	v_pack_b32_f16 v26, v26, v81
	v_pack_b32_f16 v27, v27, v83
	;; [unrolled: 1-line block ×10, first 2 shown]
	ds_write2_b32 v32, v26, v27 offset1:72
	ds_write2_b32 v32, v50, v51 offset0:144 offset1:216
	ds_write2_b32 v68, v52, v53 offset0:32 offset1:104
	;; [unrolled: 1-line block ×4, first 2 shown]
.LBB0_13:
	s_or_b32 exec_lo, exec_lo, s2
	s_waitcnt lgkmcnt(0)
	s_barrier
	buffer_gl0_inv
	s_and_saveexec_b32 s1, vcc_lo
	s_cbranch_execz .LBB0_15
; %bb.14:
	v_add_nc_u32_e32 v12, 0x400, v32
	v_add_nc_u32_e32 v13, 0x800, v32
	ds_read2_b32 v[22:23], v32 offset1:72
	ds_read2_b32 v[24:25], v32 offset0:144 offset1:216
	ds_read2_b32 v[20:21], v12 offset0:32 offset1:104
	;; [unrolled: 1-line block ×4, first 2 shown]
	s_waitcnt lgkmcnt(4)
	v_lshrrev_b32_e32 v46, 16, v22
	v_lshrrev_b32_e32 v47, 16, v23
	s_waitcnt lgkmcnt(3)
	v_lshrrev_b32_e32 v45, 16, v24
	v_lshrrev_b32_e32 v48, 16, v25
	;; [unrolled: 3-line block ×5, first 2 shown]
.LBB0_15:
	s_or_b32 exec_lo, exec_lo, s1
	v_add_f16_e32 v50, v43, v49
	v_add_f16_e32 v59, v19, v21
	;; [unrolled: 1-line block ×4, first 2 shown]
	v_sub_f16_e32 v57, v40, v43
	v_fma_f16 v60, -0.5, v50, v46
	v_sub_f16_e32 v50, v45, v49
	v_fma_f16 v69, -0.5, v59, v23
	v_add_f16_e32 v59, v42, v44
	v_add_f16_e32 v63, v39, v48
	v_fma_f16 v56, -0.5, v26, v22
	v_fma_f16 v54, -0.5, v27, v22
	v_sub_f16_e32 v26, v24, v20
	v_sub_f16_e32 v27, v12, v18
	v_add_f16_e32 v73, v57, v50
	v_add_f16_e32 v50, v13, v25
	v_fma_f16 v80, -0.5, v59, v47
	v_sub_f16_e32 v76, v25, v13
	v_sub_f16_e32 v79, v21, v19
	v_fma_f16 v74, -0.5, v63, v47
	v_add_f16_e32 v72, v27, v26
	v_sub_f16_e32 v26, v20, v24
	v_sub_f16_e32 v27, v18, v12
	v_add_f16_e32 v51, v40, v45
	v_sub_f16_e32 v67, v48, v39
	v_sub_f16_e32 v70, v44, v42
	v_fma_f16 v71, -0.5, v50, v23
	v_fmamk_f16 v63, v76, 0x3b9c, v80
	v_sub_f16_e32 v66, v48, v44
	v_sub_f16_e32 v77, v39, v42
	v_fmamk_f16 v85, v79, 0xbb9c, v74
	v_sub_f16_e32 v78, v44, v48
	v_sub_f16_e32 v81, v42, v39
	;; [unrolled: 1-line block ×6, first 2 shown]
	v_add_f16_e32 v75, v27, v26
	v_fma_f16 v58, -0.5, v51, v46
	v_fmamk_f16 v26, v67, 0xbb9c, v69
	v_sub_f16_e32 v61, v25, v21
	v_sub_f16_e32 v50, v13, v19
	v_fmamk_f16 v84, v70, 0x3b9c, v71
	v_sub_f16_e32 v59, v21, v25
	v_sub_f16_e32 v83, v19, v13
	v_fmac_f16_e32 v63, 0x38b4, v79
	v_add_f16_e32 v82, v77, v66
	v_fmac_f16_e32 v85, 0x38b4, v76
	v_add_f16_e32 v77, v81, v78
	v_fmamk_f16 v52, v64, 0xbb9c, v56
	v_fmamk_f16 v53, v65, 0x3b9c, v54
	;; [unrolled: 1-line block ×4, first 2 shown]
	v_sub_f16_e32 v27, v49, v45
	v_sub_f16_e32 v51, v43, v40
	v_fmac_f16_e32 v26, 0xb8b4, v70
	v_add_f16_e32 v81, v50, v61
	v_fmac_f16_e32 v84, 0xb8b4, v67
	v_add_f16_e32 v78, v83, v59
	v_fmac_f16_e32 v63, 0x34f2, v82
	v_fmac_f16_e32 v85, 0x34f2, v77
	;; [unrolled: 1-line block ×6, first 2 shown]
	v_add_f16_e32 v83, v51, v27
	v_fmac_f16_e32 v26, 0x34f2, v81
	v_fmac_f16_e32 v84, 0x34f2, v78
	v_mul_f16_e32 v59, 0xb8b4, v63
	v_mul_f16_e32 v61, 0xbb9c, v85
	;; [unrolled: 1-line block ×4, first 2 shown]
	v_fmac_f16_e32 v52, 0x34f2, v72
	v_fmac_f16_e32 v53, 0x34f2, v75
	;; [unrolled: 1-line block ×8, first 2 shown]
	v_sub_f16_e32 v26, v52, v59
	v_sub_f16_e32 v27, v53, v61
	;; [unrolled: 1-line block ×4, first 2 shown]
	s_barrier
	buffer_gl0_inv
	s_and_saveexec_b32 s1, vcc_lo
	s_cbranch_execz .LBB0_17
; %bb.16:
	v_mul_f16_e32 v86, 0x3b9c, v62
	v_mul_f16_e32 v87, 0x38b4, v68
	;; [unrolled: 1-line block ×5, first 2 shown]
	v_sub_f16_e32 v60, v60, v86
	v_mul_f16_e32 v79, 0x3b9c, v79
	v_mul_f16_e32 v89, 0x3b9c, v67
	v_sub_f16_e32 v80, v80, v88
	v_mul_f16_e32 v88, 0x38b4, v70
	v_sub_f16_e32 v60, v60, v87
	v_mul_f16_e32 v70, 0x3b9c, v70
	v_mul_f16_e32 v76, 0x38b4, v76
	v_add_f16_e32 v45, v45, v46
	v_mul_f16_e32 v85, 0x38b4, v65
	v_add_f16_e32 v60, v73, v60
	v_add_f16_e32 v73, v79, v74
	v_mul_f16_e32 v65, 0x3b9c, v65
	v_mul_f16_e32 v68, 0x3b9c, v68
	v_mul_f16_e32 v82, 0x34f2, v82
	v_add_f16_e32 v69, v89, v69
	v_sub_f16_e32 v80, v80, v90
	v_mul_f16_e32 v67, 0x38b4, v67
	v_mul_f16_e32 v77, 0x34f2, v77
	v_sub_f16_e32 v70, v71, v70
	v_sub_f16_e32 v71, v73, v76
	v_add_f16_e32 v47, v48, v47
	v_add_f16_e32 v22, v24, v22
	;; [unrolled: 1-line block ×3, first 2 shown]
	v_mul_f16_e32 v84, 0x3b9c, v64
	v_add_f16_e32 v45, v49, v45
	v_mul_f16_e32 v64, 0x38b4, v64
	v_mul_f16_e32 v62, 0x38b4, v62
	;; [unrolled: 1-line block ×3, first 2 shown]
	v_add_f16_e32 v69, v88, v69
	v_add_f16_e32 v80, v82, v80
	v_mul_f16_e32 v74, 0x34f2, v78
	v_add_f16_e32 v46, v68, v58
	v_add_f16_e32 v58, v67, v70
	;; [unrolled: 1-line block ×4, first 2 shown]
	v_sub_f16_e32 v25, v54, v65
	v_add_f16_e32 v20, v20, v22
	v_add_f16_e32 v21, v21, v23
	;; [unrolled: 1-line block ×4, first 2 shown]
	v_mul_f16_e32 v75, 0x34f2, v75
	v_mul_f16_e32 v83, 0x34f2, v83
	v_add_f16_e32 v69, v81, v69
	v_sub_f16_e32 v46, v46, v62
	v_add_f16_e32 v48, v74, v58
	v_mul_f16_e32 v49, 0xb4f2, v67
	v_add_f16_e32 v42, v42, v44
	v_mul_f16_e32 v22, 0x38b4, v80
	;; [unrolled: 2-line block ×3, first 2 shown]
	v_add_f16_e32 v18, v18, v20
	v_add_f16_e32 v19, v19, v21
	v_mul_f16_e32 v72, 0x34f2, v72
	v_mul_f16_e32 v81, 0xba79, v80
	v_add_f16_e32 v40, v40, v43
	v_add_f16_e32 v43, v85, v45
	;; [unrolled: 1-line block ×3, first 2 shown]
	v_fmac_f16_e32 v49, 0x3b9c, v48
	v_add_f16_e32 v24, v39, v42
	v_fma_f16 v20, v69, 0xba79, -v22
	v_add_f16_e32 v21, v75, v23
	v_fma_f16 v22, v48, 0xb4f2, -v25
	v_add_f16_e32 v12, v12, v18
	v_add_f16_e32 v13, v13, v19
	v_fmac_f16_e32 v81, 0x38b4, v69
	v_add_f16_e32 v39, v72, v43
	v_sub_f16_e32 v42, v46, v49
	v_sub_f16_e32 v23, v40, v24
	;; [unrolled: 1-line block ×4, first 2 shown]
	v_add_f16_e32 v18, v46, v49
	v_add_f16_e32 v46, v57, v66
	;; [unrolled: 1-line block ×4, first 2 shown]
	v_and_b32_e32 v24, 0xffff, v36
	v_add_f16_e32 v12, v13, v12
	v_add_f16_e32 v13, v21, v22
	;; [unrolled: 1-line block ×4, first 2 shown]
	v_sub_f16_e32 v25, v39, v20
	v_add_f16_e32 v45, v60, v81
	v_add_f16_e32 v20, v39, v20
	v_sub_f16_e32 v73, v60, v81
	v_lshl_add_u32 v36, v24, 2, v31
	v_pack_b32_f16 v12, v12, v19
	v_pack_b32_f16 v19, v13, v18
	;; [unrolled: 1-line block ×6, first 2 shown]
	v_perm_b32 v23, v51, v27, 0x5040100
	v_perm_b32 v22, v50, v26, 0x5040100
	v_pack_b32_f16 v25, v25, v73
	v_pack_b32_f16 v24, v43, v42
	ds_write2_b64 v36, v[12:13], v[18:19] offset1:1
	ds_write2_b64 v36, v[20:21], v[22:23] offset0:2 offset1:3
	ds_write_b64 v36, v[24:25] offset:32
.LBB0_17:
	s_or_b32 exec_lo, exec_lo, s1
	v_add_nc_u32_e32 v18, 0x200, v33
	v_add_nc_u32_e32 v19, 0x600, v33
	s_waitcnt lgkmcnt(0)
	s_barrier
	buffer_gl0_inv
	ds_read2_b32 v[12:13], v33 offset1:120
	ds_read2_b32 v[21:22], v18 offset0:112 offset1:232
	ds_read2_b32 v[23:24], v19 offset0:96 offset1:216
	s_waitcnt lgkmcnt(0)
	s_barrier
	buffer_gl0_inv
	v_lshrrev_b32_e32 v19, 16, v12
	v_lshrrev_b32_e32 v25, 16, v21
	;; [unrolled: 1-line block ×3, first 2 shown]
	v_mul_f16_sdwa v42, v8, v21 dst_sel:DWORD dst_unused:UNUSED_PAD src0_sel:WORD_1 src1_sel:DWORD
	v_lshrrev_b32_e32 v39, 16, v22
	v_lshrrev_b32_e32 v40, 16, v24
	v_mul_f16_sdwa v43, v9, v23 dst_sel:DWORD dst_unused:UNUSED_PAD src0_sel:WORD_1 src1_sel:DWORD
	v_mul_f16_sdwa v44, v10, v22 dst_sel:DWORD dst_unused:UNUSED_PAD src0_sel:WORD_1 src1_sel:DWORD
	v_mul_f16_sdwa v45, v11, v24 dst_sel:DWORD dst_unused:UNUSED_PAD src0_sel:WORD_1 src1_sel:DWORD
	v_mul_f16_sdwa v46, v8, v25 dst_sel:DWORD dst_unused:UNUSED_PAD src0_sel:WORD_1 src1_sel:DWORD
	v_fma_f16 v25, v8, v25, -v42
	v_mul_f16_sdwa v42, v9, v36 dst_sel:DWORD dst_unused:UNUSED_PAD src0_sel:WORD_1 src1_sel:DWORD
	v_fma_f16 v36, v9, v36, -v43
	v_mul_f16_sdwa v43, v10, v39 dst_sel:DWORD dst_unused:UNUSED_PAD src0_sel:WORD_1 src1_sel:DWORD
	;; [unrolled: 2-line block ×3, first 2 shown]
	v_fma_f16 v40, v11, v40, -v45
	v_fmac_f16_e32 v46, v8, v21
	v_fmac_f16_e32 v42, v9, v23
	v_lshrrev_b32_e32 v20, 16, v13
	v_fmac_f16_e32 v43, v10, v22
	v_fmac_f16_e32 v44, v11, v24
	v_sub_f16_e32 v11, v25, v36
	v_add_f16_e32 v8, v19, v25
	v_add_f16_e32 v9, v25, v36
	;; [unrolled: 1-line block ×4, first 2 shown]
	v_sub_f16_e32 v22, v39, v40
	v_add_f16_e32 v24, v20, v39
	v_add_f16_e32 v39, v43, v44
	;; [unrolled: 1-line block ×3, first 2 shown]
	v_fmac_f16_e32 v19, -0.5, v9
	v_sub_f16_e32 v9, v46, v42
	v_fmac_f16_e32 v20, -0.5, v10
	v_fma_f16 v10, -0.5, v25, v12
	v_add_f16_e32 v21, v8, v36
	v_add_f16_e32 v36, v13, v43
	v_fmac_f16_e32 v13, -0.5, v39
	v_sub_f16_e32 v25, v43, v44
	v_add_f16_e32 v8, v23, v42
	v_fmamk_f16 v23, v9, 0x3aee, v19
	v_fmac_f16_e32 v19, 0xbaee, v9
	v_fmamk_f16 v9, v11, 0xbaee, v10
	v_fmac_f16_e32 v10, 0x3aee, v11
	v_add_f16_e32 v11, v36, v44
	v_fmamk_f16 v12, v22, 0xbaee, v13
	v_fmac_f16_e32 v13, 0x3aee, v22
	v_add_f16_e32 v24, v24, v40
	v_fmamk_f16 v22, v25, 0x3aee, v20
	v_fmac_f16_e32 v20, 0xbaee, v25
	v_pack_b32_f16 v25, v8, v21
	v_pack_b32_f16 v36, v9, v23
	;; [unrolled: 1-line block ×6, first 2 shown]
	ds_write2_b32 v37, v25, v36 offset1:10
	ds_write_b32 v37, v39 offset:80
	ds_write2_b32 v38, v40, v42 offset1:10
	ds_write_b32 v38, v43 offset:80
	s_waitcnt lgkmcnt(0)
	s_barrier
	buffer_gl0_inv
	s_and_saveexec_b32 s1, s0
	s_cbranch_execz .LBB0_19
; %bb.18:
	v_add_nc_u32_e32 v12, 0x400, v33
	v_add_nc_u32_e32 v19, 0x800, v33
	ds_read2_b32 v[8:9], v33 offset1:90
	ds_read2_b32 v[10:11], v18 offset0:52 offset1:142
	ds_read2_b32 v[12:13], v12 offset0:104 offset1:194
	;; [unrolled: 1-line block ×3, first 2 shown]
	s_waitcnt lgkmcnt(3)
	v_lshrrev_b32_e32 v21, 16, v8
	v_lshrrev_b32_e32 v23, 16, v9
	s_waitcnt lgkmcnt(2)
	v_lshrrev_b32_e32 v19, 16, v10
	v_lshrrev_b32_e32 v24, 16, v11
	;; [unrolled: 3-line block ×4, first 2 shown]
.LBB0_19:
	s_or_b32 exec_lo, exec_lo, s1
	v_add_nc_u32_e32 v18, 0x1e0, v41
	s_barrier
	buffer_gl0_inv
	s_and_saveexec_b32 s1, s0
	s_cbranch_execz .LBB0_21
; %bb.20:
	v_mul_f16_sdwa v38, v0, v9 dst_sel:DWORD dst_unused:UNUSED_PAD src0_sel:WORD_1 src1_sel:DWORD
	v_mul_f16_sdwa v39, v4, v13 dst_sel:DWORD dst_unused:UNUSED_PAD src0_sel:WORD_1 src1_sel:DWORD
	;; [unrolled: 1-line block ×5, first 2 shown]
	v_fma_f16 v38, v0, v23, -v38
	v_fma_f16 v39, v4, v20, -v39
	v_fmac_f16_e32 v40, v2, v11
	v_mul_f16_sdwa v11, v2, v11 dst_sel:DWORD dst_unused:UNUSED_PAD src0_sel:WORD_1 src1_sel:DWORD
	v_mul_f16_sdwa v23, v0, v23 dst_sel:DWORD dst_unused:UNUSED_PAD src0_sel:WORD_1 src1_sel:DWORD
	;; [unrolled: 1-line block ×6, first 2 shown]
	v_fma_f16 v2, v2, v24, -v11
	v_fma_f16 v11, v6, v51, -v42
	v_fmac_f16_e32 v23, v0, v9
	v_fmac_f16_e32 v20, v4, v13
	v_mul_f16_sdwa v0, v1, v19 dst_sel:DWORD dst_unused:UNUSED_PAD src0_sel:WORD_1 src1_sel:DWORD
	v_mul_f16_sdwa v4, v5, v50 dst_sel:DWORD dst_unused:UNUSED_PAD src0_sel:WORD_1 src1_sel:DWORD
	v_fma_f16 v25, v1, v19, -v25
	v_fma_f16 v36, v5, v50, -v36
	v_fmac_f16_e32 v37, v3, v12
	v_fmac_f16_e32 v43, v6, v27
	v_sub_f16_e32 v6, v2, v11
	v_mul_f16_sdwa v11, v3, v12 dst_sel:DWORD dst_unused:UNUSED_PAD src0_sel:WORD_1 src1_sel:DWORD
	v_fmac_f16_e32 v0, v1, v10
	v_fmac_f16_e32 v4, v5, v26
	v_sub_f16_e32 v36, v25, v36
	v_sub_f16_e32 v37, v8, v37
	;; [unrolled: 1-line block ×4, first 2 shown]
	v_fma_f16 v3, v3, v22, -v11
	v_sub_f16_e32 v4, v0, v4
	v_add_f16_e32 v41, v36, v37
	v_sub_f16_e32 v1, v40, v43
	v_add_f16_e32 v5, v6, v9
	v_sub_f16_e32 v3, v21, v3
	v_fma_f16 v8, v8, 2.0, -v37
	v_fma_f16 v0, v0, 2.0, -v4
	;; [unrolled: 1-line block ×4, first 2 shown]
	v_sub_f16_e32 v10, v39, v1
	v_fmamk_f16 v11, v5, 0x39a8, v41
	v_sub_f16_e32 v4, v3, v4
	v_sub_f16_e32 v0, v8, v0
	;; [unrolled: 1-line block ×3, first 2 shown]
	v_fma_f16 v6, v21, 2.0, -v3
	v_fma_f16 v13, v25, 2.0, -v36
	;; [unrolled: 1-line block ×4, first 2 shown]
	v_fmac_f16_e32 v11, 0x39a8, v10
	v_fmamk_f16 v21, v10, 0x39a8, v4
	v_add_f16_e32 v22, v0, v2
	v_sub_f16_e32 v13, v6, v13
	v_sub_f16_e32 v1, v19, v1
	v_fma_f16 v23, v37, 2.0, -v41
	v_fma_f16 v9, v9, 2.0, -v5
	;; [unrolled: 1-line block ×4, first 2 shown]
	v_fmac_f16_e32 v21, 0xb9a8, v5
	v_fma_f16 v5, v0, 2.0, -v22
	v_sub_f16_e32 v24, v13, v1
	v_fmamk_f16 v25, v9, 0xb9a8, v23
	v_fma_f16 v0, v8, 2.0, -v0
	v_fma_f16 v1, v19, 2.0, -v1
	;; [unrolled: 1-line block ×3, first 2 shown]
	v_mov_b32_e32 v8, 0xf0
	v_fma_f16 v2, v12, 2.0, -v2
	v_fmamk_f16 v12, v10, 0xb9a8, v3
	v_fmac_f16_e32 v25, 0x39a8, v10
	v_sub_f16_e32 v1, v0, v1
	v_mul_u32_u24_sdwa v8, v35, v8 dst_sel:DWORD dst_unused:UNUSED_PAD src0_sel:WORD_0 src1_sel:DWORD
	v_sub_f16_e32 v2, v6, v2
	v_fmac_f16_e32 v12, 0xb9a8, v9
	v_fma_f16 v9, v23, 2.0, -v25
	v_fma_f16 v0, v0, 2.0, -v1
	v_add_nc_u32_e32 v8, v8, v34
	v_fma_f16 v6, v6, 2.0, -v2
	v_fma_f16 v3, v3, 2.0, -v12
	;; [unrolled: 1-line block ×5, first 2 shown]
	v_lshl_add_u32 v8, v8, 2, v31
	v_pack_b32_f16 v0, v0, v6
	v_pack_b32_f16 v3, v9, v3
	v_pack_b32_f16 v5, v5, v10
	v_pack_b32_f16 v4, v20, v4
	v_pack_b32_f16 v1, v1, v2
	v_pack_b32_f16 v2, v25, v12
	v_pack_b32_f16 v6, v22, v24
	v_pack_b32_f16 v9, v11, v21
	ds_write2_b32 v8, v0, v3 offset1:30
	ds_write2_b32 v8, v5, v4 offset0:60 offset1:90
	ds_write2_b32 v8, v1, v2 offset0:120 offset1:150
	;; [unrolled: 1-line block ×3, first 2 shown]
.LBB0_21:
	s_or_b32 exec_lo, exec_lo, s1
	v_add_nc_u32_e32 v2, 0x200, v33
	v_add_nc_u32_e32 v4, 0x600, v33
	s_waitcnt lgkmcnt(0)
	s_barrier
	buffer_gl0_inv
	ds_read2_b32 v[0:1], v33 offset1:120
	ds_read2_b32 v[2:3], v2 offset0:112 offset1:232
	ds_read2_b32 v[4:5], v4 offset0:96 offset1:216
	s_waitcnt lgkmcnt(2)
	v_lshrrev_b32_e32 v6, 16, v0
	s_waitcnt lgkmcnt(1)
	v_lshrrev_b32_e32 v9, 16, v2
	;; [unrolled: 2-line block ×3, first 2 shown]
	v_mul_f16_sdwa v13, v14, v2 dst_sel:DWORD dst_unused:UNUSED_PAD src0_sel:WORD_1 src1_sel:DWORD
	v_lshrrev_b32_e32 v11, 16, v3
	v_lshrrev_b32_e32 v12, 16, v5
	v_mul_f16_sdwa v19, v15, v4 dst_sel:DWORD dst_unused:UNUSED_PAD src0_sel:WORD_1 src1_sel:DWORD
	v_mul_f16_sdwa v20, v16, v3 dst_sel:DWORD dst_unused:UNUSED_PAD src0_sel:WORD_1 src1_sel:DWORD
	;; [unrolled: 1-line block ×3, first 2 shown]
	v_fma_f16 v9, v14, v9, -v13
	v_mul_f16_sdwa v13, v15, v10 dst_sel:DWORD dst_unused:UNUSED_PAD src0_sel:WORD_1 src1_sel:DWORD
	v_fma_f16 v10, v15, v10, -v19
	v_mul_f16_sdwa v19, v16, v11 dst_sel:DWORD dst_unused:UNUSED_PAD src0_sel:WORD_1 src1_sel:DWORD
	;; [unrolled: 2-line block ×3, first 2 shown]
	v_mul_f16_sdwa v21, v17, v5 dst_sel:DWORD dst_unused:UNUSED_PAD src0_sel:WORD_1 src1_sel:DWORD
	v_fmac_f16_e32 v22, v14, v2
	v_fmac_f16_e32 v13, v15, v4
	;; [unrolled: 1-line block ×4, first 2 shown]
	v_lshrrev_b32_e32 v8, 16, v1
	v_fma_f16 v12, v17, v12, -v21
	v_add_f16_e32 v4, v9, v10
	v_add_f16_e32 v15, v22, v13
	;; [unrolled: 1-line block ×4, first 2 shown]
	v_sub_f16_e32 v2, v9, v10
	v_sub_f16_e32 v5, v11, v12
	v_add_f16_e32 v9, v8, v11
	v_add_f16_e32 v11, v11, v12
	;; [unrolled: 1-line block ×3, first 2 shown]
	v_fmac_f16_e32 v6, -0.5, v4
	v_sub_f16_e32 v4, v22, v13
	v_fma_f16 v0, -0.5, v15, v0
	v_add_f16_e32 v3, v3, v10
	v_add_f16_e32 v10, v1, v19
	v_fmac_f16_e32 v1, -0.5, v16
	v_fmac_f16_e32 v8, -0.5, v11
	v_add_f16_e32 v11, v14, v13
	v_fmamk_f16 v13, v4, 0x3aee, v6
	v_fmac_f16_e32 v6, 0xbaee, v4
	v_fmamk_f16 v4, v2, 0xbaee, v0
	v_fmac_f16_e32 v0, 0x3aee, v2
	v_sub_f16_e32 v2, v19, v20
	v_add_f16_e32 v10, v10, v20
	v_fmamk_f16 v14, v5, 0xbaee, v1
	v_fmac_f16_e32 v1, 0x3aee, v5
	v_add_f16_e32 v5, v9, v12
	v_fmamk_f16 v9, v2, 0x3aee, v8
	v_fmac_f16_e32 v8, 0xbaee, v2
	v_pack_b32_f16 v2, v11, v3
	v_pack_b32_f16 v3, v4, v13
	;; [unrolled: 1-line block ×3, first 2 shown]
	v_add_nc_u32_e32 v4, 0x3c0, v32
	v_pack_b32_f16 v5, v10, v5
	v_pack_b32_f16 v6, v14, v9
	;; [unrolled: 1-line block ×3, first 2 shown]
	v_add_nc_u32_e32 v8, 0x3c0, v18
	ds_write2_b32 v4, v3, v0 offset1:240
	ds_write2_b32 v32, v2, v5 offset1:120
	;; [unrolled: 1-line block ×3, first 2 shown]
	s_waitcnt lgkmcnt(0)
	s_barrier
	buffer_gl0_inv
	s_and_b32 exec_lo, exec_lo, vcc_lo
	s_cbranch_execz .LBB0_23
; %bb.22:
	s_clause 0x5
	global_load_dword v0, v29, s[10:11]
	global_load_dword v2, v29, s[10:11] offset:288
	global_load_dword v8, v29, s[10:11] offset:576
	;; [unrolled: 1-line block ×5, first 2 shown]
	v_mad_u64_u32 v[10:11], null, s6, v7, 0
	v_mad_u64_u32 v[12:13], null, s4, v28, 0
	ds_read_b32 v25, v32
	v_lshl_add_u32 v1, v30, 2, v29
	s_clause 0x1
	global_load_dword v3, v29, s[10:11] offset:1728
	global_load_dword v4, v29, s[10:11] offset:2016
	v_add_co_u32 v21, s0, s10, v29
	v_mov_b32_e32 v5, v11
	v_add_nc_u32_e32 v16, 0x200, v1
	ds_read2_b32 v[14:15], v1 offset0:72 offset1:144
	v_mov_b32_e32 v6, v13
	v_add_co_ci_u32_e64 v22, null, s11, 0, s0
	ds_read2_b32 v[16:17], v16 offset0:88 offset1:160
	v_add_nc_u32_e32 v11, 0x400, v1
	v_mad_u64_u32 v[18:19], null, s7, v7, v[5:6]
	v_mad_u64_u32 v[19:20], null, s5, v28, v[6:7]
	v_add_co_u32 v20, vcc_lo, 0x800, v21
	v_add_co_ci_u32_e32 v21, vcc_lo, 0, v22, vcc_lo
	ds_read_b32 v5, v1 offset:2592
	ds_read2_b32 v[22:23], v11 offset0:104 offset1:176
	v_mov_b32_e32 v11, v18
	s_waitcnt lgkmcnt(4)
	v_lshrrev_b32_e32 v18, 16, v25
	s_clause 0x1
	global_load_dword v7, v[20:21], off offset:256
	global_load_dword v6, v[20:21], off offset:544
	v_mov_b32_e32 v13, v19
	s_mov_b32 s18, 0x16c16c17
	s_waitcnt lgkmcnt(3)
	v_lshrrev_b32_e32 v20, 16, v15
	v_lshrrev_b32_e32 v19, 16, v14
	s_mov_b32 s19, 0x3f56c16c
	v_lshlrev_b64 v[10:11], 2, v[10:11]
	s_waitcnt lgkmcnt(2)
	v_lshrrev_b32_e32 v21, 16, v16
	v_lshrrev_b32_e32 v26, 16, v17
	v_lshlrev_b64 v[12:13], 2, v[12:13]
	s_mul_i32 s0, s5, 0x120
	s_mul_hi_u32 s20, s4, 0x120
	v_add_co_u32 v10, vcc_lo, s8, v10
	v_add_co_ci_u32_e32 v11, vcc_lo, s9, v11, vcc_lo
	s_mul_i32 s17, s4, 0x120
	s_waitcnt lgkmcnt(0)
	v_lshrrev_b32_e32 v37, 16, v22
	v_add_co_u32 v10, vcc_lo, v10, v12
	v_add_co_ci_u32_e32 v11, vcc_lo, v11, v13, vcc_lo
	s_add_i32 s20, s20, s0
	v_add_co_u32 v12, vcc_lo, v10, s17
	v_add_co_ci_u32_e32 v13, vcc_lo, s20, v11, vcc_lo
	s_waitcnt vmcnt(9)
	v_mul_f16_sdwa v27, v18, v0 dst_sel:DWORD dst_unused:UNUSED_PAD src0_sel:DWORD src1_sel:WORD_1
	v_mul_f16_sdwa v28, v25, v0 dst_sel:DWORD dst_unused:UNUSED_PAD src0_sel:DWORD src1_sel:WORD_1
	s_waitcnt vmcnt(7)
	v_mul_f16_sdwa v31, v20, v8 dst_sel:DWORD dst_unused:UNUSED_PAD src0_sel:DWORD src1_sel:WORD_1
	v_mul_f16_sdwa v32, v15, v8 dst_sel:DWORD dst_unused:UNUSED_PAD src0_sel:DWORD src1_sel:WORD_1
	v_mul_f16_sdwa v29, v19, v2 dst_sel:DWORD dst_unused:UNUSED_PAD src0_sel:DWORD src1_sel:WORD_1
	v_fmac_f16_e32 v27, v25, v0
	s_waitcnt vmcnt(6)
	v_mul_f16_sdwa v33, v21, v9 dst_sel:DWORD dst_unused:UNUSED_PAD src0_sel:DWORD src1_sel:WORD_1
	v_mul_f16_sdwa v34, v16, v9 dst_sel:DWORD dst_unused:UNUSED_PAD src0_sel:DWORD src1_sel:WORD_1
	v_fma_f16 v0, v0, v18, -v28
	v_fmac_f16_e32 v31, v15, v8
	v_fma_f16 v18, v8, v20, -v32
	v_cvt_f32_f16_e32 v8, v27
	v_mul_f16_sdwa v30, v14, v2 dst_sel:DWORD dst_unused:UNUSED_PAD src0_sel:DWORD src1_sel:WORD_1
	v_fmac_f16_e32 v29, v14, v2
	v_fmac_f16_e32 v33, v16, v9
	v_cvt_f32_f16_e32 v0, v0
	v_fma_f16 v20, v9, v21, -v34
	v_cvt_f64_f32_e32 v[8:9], v8
	s_waitcnt vmcnt(5)
	v_mul_f16_sdwa v35, v26, v24 dst_sel:DWORD dst_unused:UNUSED_PAD src0_sel:DWORD src1_sel:WORD_1
	v_fma_f16 v2, v2, v19, -v30
	v_cvt_f64_f32_e32 v[14:15], v0
	v_cvt_f32_f16_e32 v0, v29
	v_mul_f16_sdwa v38, v17, v24 dst_sel:DWORD dst_unused:UNUSED_PAD src0_sel:DWORD src1_sel:WORD_1
	s_waitcnt vmcnt(4)
	v_mul_f16_sdwa v39, v37, v36 dst_sel:DWORD dst_unused:UNUSED_PAD src0_sel:DWORD src1_sel:WORD_1
	v_fmac_f16_e32 v35, v17, v24
	v_cvt_f32_f16_e32 v2, v2
	v_cvt_f64_f32_e32 v[16:17], v0
	v_mul_f16_sdwa v40, v22, v36 dst_sel:DWORD dst_unused:UNUSED_PAD src0_sel:DWORD src1_sel:WORD_1
	v_fma_f16 v21, v24, v26, -v38
	v_fmac_f16_e32 v39, v22, v36
	v_cvt_f32_f16_e32 v22, v31
	v_cvt_f32_f16_e32 v24, v18
	v_cvt_f64_f32_e32 v[18:19], v2
	v_cvt_f32_f16_e32 v2, v20
	v_cvt_f32_f16_e32 v32, v21
	v_cvt_f64_f32_e32 v[20:21], v22
	v_cvt_f32_f16_e32 v0, v33
	v_cvt_f64_f32_e32 v[24:25], v24
	v_cvt_f32_f16_e32 v30, v35
	v_mul_f64 v[8:9], v[8:9], s[18:19]
	v_cvt_f64_f32_e32 v[28:29], v2
	v_cvt_f64_f32_e32 v[26:27], v0
	v_mul_f64 v[14:15], v[14:15], s[18:19]
	v_fma_f16 v0, v36, v37, -v40
	v_cvt_f64_f32_e32 v[30:31], v30
	v_add_co_u32 v36, vcc_lo, v12, s17
	v_add_co_ci_u32_e32 v37, vcc_lo, s20, v13, vcc_lo
	v_mul_f64 v[16:17], v[16:17], s[18:19]
	v_cvt_f32_f16_e32 v0, v0
	v_cvt_f64_f32_e32 v[32:33], v32
	v_add_co_u32 v38, vcc_lo, v36, s17
	v_mul_f64 v[18:19], v[18:19], s[18:19]
	v_cvt_f64_f32_e32 v[40:41], v0
	v_cvt_f32_f16_e32 v34, v39
	v_mul_f64 v[20:21], v[20:21], s[18:19]
	v_add_co_ci_u32_e32 v39, vcc_lo, s20, v37, vcc_lo
	v_mul_f64 v[24:25], v[24:25], s[18:19]
	v_and_or_b32 v0, 0x1ff, v9, v8
	v_mul_f64 v[28:29], v[28:29], s[18:19]
	v_mul_f64 v[26:27], v[26:27], s[18:19]
	v_and_or_b32 v14, 0x1ff, v15, v14
	v_lshrrev_b32_e32 v2, 8, v9
	v_cmp_ne_u32_e32 vcc_lo, 0, v0
	v_mul_f64 v[30:31], v[30:31], s[18:19]
	v_bfe_u32 v8, v9, 20, 11
	v_lshrrev_b32_e32 v22, 8, v15
	v_bfe_u32 v42, v15, 20, 11
	v_and_or_b32 v16, 0x1ff, v17, v16
	v_cndmask_b32_e64 v0, 0, 1, vcc_lo
	v_cmp_ne_u32_e32 vcc_lo, 0, v14
	v_mul_f64 v[32:33], v[32:33], s[18:19]
	v_lshrrev_b32_e32 v43, 8, v17
	v_and_or_b32 v18, 0x1ff, v19, v18
	v_and_or_b32 v0, 0xffe, v2, v0
	v_cndmask_b32_e64 v14, 0, 1, vcc_lo
	v_cmp_ne_u32_e32 vcc_lo, 0, v16
	v_and_or_b32 v20, 0x1ff, v21, v20
	v_bfe_u32 v44, v17, 20, 11
	v_and_or_b32 v24, 0x1ff, v25, v24
	v_bfe_u32 v46, v19, 20, 11
	v_cndmask_b32_e64 v16, 0, 1, vcc_lo
	v_cmp_ne_u32_e32 vcc_lo, 0, v18
	v_and_or_b32 v26, 0x1ff, v27, v26
	v_and_or_b32 v28, 0x1ff, v29, v28
	v_sub_nc_u32_e32 v59, 0x3f1, v8
	v_and_or_b32 v30, 0x1ff, v31, v30
	v_cndmask_b32_e64 v18, 0, 1, vcc_lo
	v_cmp_ne_u32_e32 vcc_lo, 0, v20
	v_add_nc_u32_e32 v8, 0xfffffc10, v8
	v_sub_nc_u32_e32 v60, 0x3f1, v42
	v_and_or_b32 v14, 0xffe, v22, v14
	v_lshrrev_b32_e32 v45, 8, v19
	v_cndmask_b32_e64 v20, 0, 1, vcc_lo
	v_cmp_ne_u32_e32 vcc_lo, 0, v24
	v_and_or_b32 v32, 0x1ff, v33, v32
	v_bfe_u32 v48, v21, 20, 11
	v_bfe_u32 v50, v25, 20, 11
	v_add_nc_u32_e32 v42, 0xfffffc10, v42
	v_cndmask_b32_e64 v24, 0, 1, vcc_lo
	v_cmp_ne_u32_e32 vcc_lo, 0, v26
	v_sub_nc_u32_e32 v61, 0x3f1, v44
	v_sub_nc_u32_e32 v62, 0x3f1, v46
	v_med3_i32 v2, v59, 0, 13
	v_med3_i32 v22, v60, 0, 13
	v_cndmask_b32_e64 v26, 0, 1, vcc_lo
	v_cmp_ne_u32_e32 vcc_lo, 0, v28
	v_and_or_b32 v16, 0xffe, v43, v16
	v_or_b32_e32 v59, 0x1000, v0
	v_lshl_or_b32 v60, v8, 12, v0
	v_lshrrev_b32_e32 v47, 8, v21
	v_cndmask_b32_e64 v28, 0, 1, vcc_lo
	v_cmp_ne_u32_e32 vcc_lo, 0, v30
	v_lshrrev_b32_e32 v49, 8, v25
	v_bfe_u32 v52, v27, 20, 11
	v_bfe_u32 v54, v29, 20, 11
	v_add_nc_u32_e32 v44, 0xfffffc10, v44
	v_cndmask_b32_e64 v30, 0, 1, vcc_lo
	v_cmp_ne_u32_e32 vcc_lo, 0, v32
	v_sub_nc_u32_e32 v63, 0x3f1, v48
	v_sub_nc_u32_e32 v64, 0x3f1, v50
	v_med3_i32 v43, v61, 0, 13
	v_and_or_b32 v18, 0xffe, v45, v18
	v_cndmask_b32_e64 v32, 0, 1, vcc_lo
	v_cmp_ne_u32_e32 vcc_lo, 0, v0
	v_med3_i32 v45, v62, 0, 13
	v_or_b32_e32 v61, 0x1000, v14
	v_lshl_or_b32 v62, v42, 12, v14
	v_lshrrev_b32_e32 v51, 8, v27
	v_cndmask_b32_e64 v0, 0, 1, vcc_lo
	v_cmp_ne_u32_e32 vcc_lo, 0, v14
	v_lshrrev_b32_e32 v53, 8, v29
	v_bfe_u32 v56, v31, 20, 11
	v_bfe_u32 v58, v33, 20, 11
	v_add_nc_u32_e32 v46, 0xfffffc10, v46
	v_cndmask_b32_e64 v14, 0, 1, vcc_lo
	v_cmp_ne_u32_e32 vcc_lo, 0, v16
	v_sub_nc_u32_e32 v65, 0x3f1, v52
	v_sub_nc_u32_e32 v66, 0x3f1, v54
	v_and_or_b32 v20, 0xffe, v47, v20
	v_med3_i32 v47, v63, 0, 13
	v_and_or_b32 v24, 0xffe, v49, v24
	v_med3_i32 v49, v64, 0, 13
	v_or_b32_e32 v63, 0x1000, v16
	v_lshl_or_b32 v64, v44, 12, v16
	v_cndmask_b32_e64 v16, 0, 1, vcc_lo
	v_cmp_ne_u32_e32 vcc_lo, 0, v18
	v_lshrrev_b32_e32 v55, 8, v31
	v_lshrrev_b32_e32 v57, 8, v33
	v_add_nc_u32_e32 v48, 0xfffffc10, v48
	v_sub_nc_u32_e32 v67, 0x3f1, v56
	v_sub_nc_u32_e32 v68, 0x3f1, v58
	v_and_or_b32 v26, 0xffe, v51, v26
	v_med3_i32 v51, v65, 0, 13
	v_and_or_b32 v28, 0xffe, v53, v28
	v_med3_i32 v53, v66, 0, 13
	v_or_b32_e32 v65, 0x1000, v18
	v_lshl_or_b32 v66, v46, 12, v18
	v_cndmask_b32_e64 v18, 0, 1, vcc_lo
	v_cmp_ne_u32_e32 vcc_lo, 0, v20
	v_add_nc_u32_e32 v50, 0xfffffc10, v50
	v_and_or_b32 v30, 0xffe, v55, v30
	v_med3_i32 v55, v67, 0, 13
	v_and_or_b32 v32, 0xffe, v57, v32
	v_med3_i32 v57, v68, 0, 13
	v_or_b32_e32 v67, 0x1000, v20
	v_lshl_or_b32 v68, v48, 12, v20
	v_cndmask_b32_e64 v20, 0, 1, vcc_lo
	v_cmp_ne_u32_e32 vcc_lo, 0, v24
	v_add_nc_u32_e32 v52, 0xfffffc10, v52
	v_or_b32_e32 v69, 0x1000, v24
	v_lshl_or_b32 v70, v50, 12, v24
	v_add_nc_u32_e32 v54, 0xfffffc10, v54
	v_cndmask_b32_e64 v24, 0, 1, vcc_lo
	v_cmp_ne_u32_e32 vcc_lo, 0, v26
	v_or_b32_e32 v71, 0x1000, v26
	v_lshl_or_b32 v72, v52, 12, v26
	v_lshrrev_b32_e32 v79, v2, v59
	v_add_nc_u32_e32 v56, 0xfffffc10, v56
	v_cndmask_b32_e64 v26, 0, 1, vcc_lo
	v_cmp_ne_u32_e32 vcc_lo, 0, v28
	v_or_b32_e32 v73, 0x1000, v28
	v_lshl_or_b32 v74, v54, 12, v28
	v_lshrrev_b32_e32 v80, v22, v61
	v_lshlrev_b32_e32 v2, v2, v79
	v_cndmask_b32_e64 v28, 0, 1, vcc_lo
	v_cmp_ne_u32_e32 vcc_lo, 0, v30
	v_or_b32_e32 v75, 0x1000, v30
	v_lshl_or_b32 v76, v56, 12, v30
	v_lshrrev_b32_e32 v81, v43, v63
	v_lshlrev_b32_e32 v22, v22, v80
	v_cndmask_b32_e64 v30, 0, 1, vcc_lo
	v_cmp_ne_u32_e32 vcc_lo, v2, v59
	v_lshrrev_b32_e32 v82, v45, v65
	v_lshlrev_b32_e32 v43, v43, v81
	v_lshrrev_b32_e32 v83, v47, v67
	v_lshrrev_b32_e32 v84, v49, v69
	v_cndmask_b32_e64 v2, 0, 1, vcc_lo
	v_cmp_ne_u32_e32 vcc_lo, v22, v61
	v_lshlrev_b32_e32 v45, v45, v82
	v_lshlrev_b32_e32 v47, v47, v83
	v_lshrrev_b32_e32 v85, v51, v71
	v_lshlrev_b32_e32 v49, v49, v84
	v_cndmask_b32_e64 v22, 0, 1, vcc_lo
	v_cmp_ne_u32_e32 vcc_lo, v43, v63
	v_lshrrev_b32_e32 v86, v53, v73
	v_lshlrev_b32_e32 v51, v51, v85
	v_or_b32_e32 v77, 0x1000, v32
	v_lshrrev_b32_e32 v87, v55, v75
	v_cndmask_b32_e64 v43, 0, 1, vcc_lo
	v_cmp_ne_u32_e32 vcc_lo, v45, v65
	v_lshlrev_b32_e32 v53, v53, v86
	v_lshrrev_b32_e32 v88, v57, v77
	v_lshlrev_b32_e32 v55, v55, v87
	v_or_b32_e32 v2, v79, v2
	v_cndmask_b32_e64 v45, 0, 1, vcc_lo
	v_cmp_ne_u32_e32 vcc_lo, v47, v67
	v_lshlrev_b32_e32 v57, v57, v88
	v_or_b32_e32 v22, v80, v22
	v_or_b32_e32 v43, v81, v43
	;; [unrolled: 1-line block ×3, first 2 shown]
	v_cndmask_b32_e64 v47, 0, 1, vcc_lo
	v_cmp_ne_u32_e32 vcc_lo, v49, v69
	v_add_nc_u32_e32 v58, 0xfffffc10, v58
	v_cvt_f64_f32_e32 v[34:35], v34
	v_lshl_or_b32 v0, v0, 9, 0x7c00
	v_or_b32_e32 v47, v83, v47
	v_cndmask_b32_e64 v49, 0, 1, vcc_lo
	v_cmp_ne_u32_e32 vcc_lo, v51, v71
	v_lshl_or_b32 v78, v58, 12, v32
	v_lshl_or_b32 v14, v14, 9, 0x7c00
	;; [unrolled: 1-line block ×3, first 2 shown]
	v_or_b32_e32 v49, v84, v49
	v_cndmask_b32_e64 v51, 0, 1, vcc_lo
	v_cmp_ne_u32_e32 vcc_lo, v53, v73
	v_lshl_or_b32 v18, v18, 9, 0x7c00
	v_lshl_or_b32 v20, v20, 9, 0x7c00
	;; [unrolled: 1-line block ×3, first 2 shown]
	v_or_b32_e32 v51, v85, v51
	v_cndmask_b32_e64 v53, 0, 1, vcc_lo
	v_cmp_ne_u32_e32 vcc_lo, v55, v75
	v_lshrrev_b32_e32 v9, 16, v9
	v_lshrrev_b32_e32 v17, 16, v17
	v_lshl_or_b32 v26, v26, 9, 0x7c00
	v_or_b32_e32 v53, v86, v53
	v_cndmask_b32_e64 v55, 0, 1, vcc_lo
	v_cmp_ne_u32_e32 vcc_lo, v57, v77
	v_mul_f64 v[34:35], v[34:35], s[18:19]
	v_lshrrev_b32_e32 v19, 16, v19
	v_lshrrev_b32_e32 v21, 16, v21
	v_or_b32_e32 v55, v87, v55
	v_cndmask_b32_e64 v57, 0, 1, vcc_lo
	v_cmp_gt_i32_e32 vcc_lo, 1, v8
	v_lshrrev_b32_e32 v15, 16, v15
	v_lshl_or_b32 v28, v28, 9, 0x7c00
	v_lshrrev_b32_e32 v25, 16, v25
	v_or_b32_e32 v57, v88, v57
	v_cndmask_b32_e32 v2, v60, v2, vcc_lo
	v_cmp_gt_i32_e32 vcc_lo, 1, v42
	v_lshrrev_b32_e32 v27, 16, v27
	v_lshl_or_b32 v30, v30, 9, 0x7c00
	v_lshrrev_b32_e32 v29, 16, v29
	v_and_b32_e32 v59, 7, v2
	v_cndmask_b32_e32 v22, v62, v22, vcc_lo
	v_cmp_gt_i32_e32 vcc_lo, 1, v44
	v_lshrrev_b32_e32 v2, 2, v2
	v_cmp_eq_u32_e64 s0, 3, v59
	v_and_b32_e32 v60, 7, v22
	v_cndmask_b32_e32 v43, v64, v43, vcc_lo
	v_cmp_gt_i32_e32 vcc_lo, 1, v46
	v_lshrrev_b32_e32 v22, 2, v22
	v_and_or_b32 v34, 0x1ff, v35, v34
	v_cmp_lt_i32_e64 s1, 5, v60
	v_and_b32_e32 v61, 7, v43
	v_cndmask_b32_e32 v45, v66, v45, vcc_lo
	v_cmp_gt_i32_e32 vcc_lo, 1, v48
	v_cmp_eq_u32_e64 s2, 3, v60
	v_lshrrev_b32_e32 v43, 2, v43
	v_cmp_lt_i32_e64 s3, 5, v61
	v_and_b32_e32 v62, 7, v45
	v_cndmask_b32_e32 v47, v68, v47, vcc_lo
	v_cmp_gt_i32_e32 vcc_lo, 1, v50
	v_cmp_eq_u32_e64 s4, 3, v61
	v_lshrrev_b32_e32 v45, 2, v45
	;; [unrolled: 6-line block ×6, first 2 shown]
	v_cmp_lt_i32_e64 s13, 5, v66
	v_and_b32_e32 v67, 7, v55
	v_cndmask_b32_e32 v57, v78, v57, vcc_lo
	v_cmp_lt_i32_e32 vcc_lo, 5, v59
	v_cmp_eq_u32_e64 s14, 3, v66
	v_lshrrev_b32_e32 v55, 2, v55
	v_cmp_lt_i32_e64 s15, 5, v67
	v_cmp_eq_u32_e64 s16, 3, v67
	s_or_b32 vcc_lo, s0, vcc_lo
	v_add_co_ci_u32_e32 v2, vcc_lo, 0, v2, vcc_lo
	s_or_b32 vcc_lo, s2, s1
	v_add_co_ci_u32_e32 v22, vcc_lo, 0, v22, vcc_lo
	s_or_b32 vcc_lo, s4, s3
	;; [unrolled: 2-line block ×8, first 2 shown]
	v_add_co_ci_u32_e32 v55, vcc_lo, 0, v55, vcc_lo
	v_cmp_gt_i32_e32 vcc_lo, 31, v8
	v_cndmask_b32_e32 v2, 0x7c00, v2, vcc_lo
	v_cmp_gt_i32_e32 vcc_lo, 31, v42
	v_cndmask_b32_e32 v22, 0x7c00, v22, vcc_lo
	;; [unrolled: 2-line block ×8, first 2 shown]
	v_cmp_eq_u32_e32 vcc_lo, 0x40f, v8
	v_cndmask_b32_e32 v0, v2, v0, vcc_lo
	v_cmp_eq_u32_e32 vcc_lo, 0x40f, v42
	v_and_or_b32 v0, 0x8000, v9, v0
	v_cndmask_b32_e32 v2, v22, v14, vcc_lo
	v_cmp_eq_u32_e32 vcc_lo, 0x40f, v44
	v_and_b32_e32 v0, 0xffff, v0
	v_and_or_b32 v2, 0x8000, v15, v2
	v_cndmask_b32_e32 v8, v43, v16, vcc_lo
	v_cmp_eq_u32_e32 vcc_lo, 0x40f, v46
	v_lshl_or_b32 v0, v2, 16, v0
	v_and_or_b32 v8, 0x8000, v17, v8
	v_cndmask_b32_e32 v14, v45, v18, vcc_lo
	v_cmp_eq_u32_e32 vcc_lo, 0x40f, v48
	v_and_b32_e32 v8, 0xffff, v8
	v_and_or_b32 v9, 0x8000, v19, v14
	v_cndmask_b32_e32 v16, v47, v20, vcc_lo
	v_cmp_eq_u32_e32 vcc_lo, 0x40f, v50
	v_lshl_or_b32 v2, v9, 16, v8
	v_and_or_b32 v14, 0x8000, v21, v16
	v_cndmask_b32_e32 v18, v49, v24, vcc_lo
	v_cmp_eq_u32_e32 vcc_lo, 0x40f, v52
	v_and_b32_e32 v14, 0xffff, v14
	v_and_or_b32 v15, 0x8000, v25, v18
	v_cndmask_b32_e32 v20, v51, v26, vcc_lo
	v_cmp_eq_u32_e32 vcc_lo, 0x40f, v54
	v_lshl_or_b32 v8, v15, 16, v14
	global_store_dword v[10:11], v0, off
	global_store_dword v[12:13], v2, off
	;; [unrolled: 1-line block ×3, first 2 shown]
	v_cndmask_b32_e32 v22, v53, v28, vcc_lo
	v_cmp_gt_i32_e32 vcc_lo, 31, v56
	v_lshrrev_b32_e32 v8, 8, v35
	v_bfe_u32 v10, v35, 20, 11
	v_and_b32_e32 v0, 7, v57
	v_and_or_b32 v16, 0x8000, v27, v20
	v_cndmask_b32_e32 v9, 0x7c00, v55, vcc_lo
	v_cmp_ne_u32_e32 vcc_lo, 0, v34
	v_and_or_b32 v17, 0x8000, v29, v22
	v_cmp_eq_u32_e64 s0, 3, v0
	v_and_b32_e32 v16, 0xffff, v16
	v_lshrrev_b32_e32 v12, 16, v31
	v_cndmask_b32_e64 v2, 0, 1, vcc_lo
	v_cmp_eq_u32_e32 vcc_lo, 0x40f, v56
	s_waitcnt vmcnt(3)
	v_mul_f16_sdwa v22, v23, v3 dst_sel:DWORD dst_unused:UNUSED_PAD src0_sel:DWORD src1_sel:WORD_1
	v_lshl_or_b32 v14, v17, 16, v16
	v_lshrrev_b32_e32 v16, 16, v23
	v_and_or_b32 v2, 0xffe, v8, v2
	v_sub_nc_u32_e32 v8, 0x3f1, v10
	v_cndmask_b32_e32 v11, v9, v30, vcc_lo
	v_cmp_lt_i32_e32 vcc_lo, 5, v0
	v_lshrrev_b32_e32 v0, 2, v57
	v_or_b32_e32 v13, 0x1000, v2
	v_med3_i32 v15, v8, 0, 13
	v_mul_f64 v[8:9], v[40:41], s[18:19]
	s_or_b32 vcc_lo, s0, vcc_lo
	v_mul_f16_sdwa v19, v16, v3 dst_sel:DWORD dst_unused:UNUSED_PAD src0_sel:DWORD src1_sel:WORD_1
	v_add_co_ci_u32_e32 v0, vcc_lo, 0, v0, vcc_lo
	v_cmp_ne_u32_e32 vcc_lo, 0, v32
	v_lshrrev_b32_e32 v18, v15, v13
	v_and_or_b32 v12, 0x8000, v12, v11
	v_fmac_f16_e32 v19, v23, v3
	global_store_dword v[38:39], v14, off
	v_cndmask_b32_e64 v17, 0, 1, vcc_lo
	v_cmp_gt_i32_e32 vcc_lo, 31, v58
	v_lshlrev_b32_e32 v11, v15, v18
	v_lshrrev_b32_e32 v15, 16, v33
	v_and_b32_e32 v12, 0xffff, v12
	v_lshl_or_b32 v17, v17, 9, 0x7c00
	v_cndmask_b32_e32 v0, 0x7c00, v0, vcc_lo
	v_cmp_eq_u32_e32 vcc_lo, 0x40f, v58
	v_fma_f16 v3, v3, v16, -v22
	v_cndmask_b32_e32 v0, v0, v17, vcc_lo
	v_cmp_ne_u32_e32 vcc_lo, v11, v13
	v_and_or_b32 v8, 0x1ff, v9, v8
	v_cvt_f32_f16_e32 v17, v19
	v_add_nc_u32_e32 v19, 0xfffffc10, v10
	v_and_or_b32 v0, 0x8000, v15, v0
	v_cndmask_b32_e64 v13, 0, 1, vcc_lo
	v_cmp_ne_u32_e32 vcc_lo, 0, v8
	v_cvt_f64_f32_e32 v[10:11], v17
	v_lshl_or_b32 v15, v19, 12, v2
	v_lshrrev_b32_e32 v17, 8, v9
	v_or_b32_e32 v13, v18, v13
	v_cndmask_b32_e64 v8, 0, 1, vcc_lo
	v_bfe_u32 v18, v9, 20, 11
	v_cmp_gt_i32_e32 vcc_lo, 1, v19
	v_lshl_or_b32 v0, v0, 16, v12
	v_cvt_f32_f16_e32 v3, v3
	v_and_or_b32 v8, 0xffe, v17, v8
	v_add_nc_u32_e32 v16, 0xfffffc10, v18
	v_cndmask_b32_e32 v15, v15, v13, vcc_lo
	v_sub_nc_u32_e32 v13, 0x3f1, v18
	v_add_co_u32 v12, vcc_lo, v38, s17
	v_or_b32_e32 v17, 0x1000, v8
	v_and_b32_e32 v14, 7, v15
	v_med3_i32 v20, v13, 0, 13
	v_add_co_ci_u32_e32 v13, vcc_lo, s20, v39, vcc_lo
	v_lshl_or_b32 v18, v16, 12, v8
	v_cmp_lt_i32_e32 vcc_lo, 5, v14
	v_lshrrev_b32_e32 v21, v20, v17
	v_cmp_eq_u32_e64 s0, 3, v14
	v_mul_f64 v[10:11], v[10:11], s[18:19]
	global_store_dword v[12:13], v0, off
	v_lshrrev_b32_e32 v0, 2, v15
	v_lshlrev_b32_e32 v14, v20, v21
	s_or_b32 vcc_lo, s0, vcc_lo
	v_lshrrev_b32_e32 v9, 16, v9
	v_add_co_u32 v12, s1, v12, s17
	v_add_co_ci_u32_e32 v15, vcc_lo, 0, v0, vcc_lo
	v_cmp_ne_u32_e32 vcc_lo, v14, v17
	v_add_nc_u32_e32 v0, 0x600, v1
	v_add_co_ci_u32_e64 v13, s1, s20, v13, s1
	v_cndmask_b32_e64 v14, 0, 1, vcc_lo
	v_cmp_ne_u32_e32 vcc_lo, 0, v2
	ds_read2_b32 v[0:1], v0 offset0:120 offset1:192
	v_cvt_f64_f32_e32 v[2:3], v3
	v_or_b32_e32 v14, v21, v14
	v_cndmask_b32_e64 v17, 0, 1, vcc_lo
	v_cmp_gt_i32_e32 vcc_lo, 31, v19
	v_and_or_b32 v10, 0x1ff, v11, v10
	v_bfe_u32 v20, v11, 20, 11
	v_lshl_or_b32 v17, v17, 9, 0x7c00
	v_cndmask_b32_e32 v15, 0x7c00, v15, vcc_lo
	v_cmp_gt_i32_e32 vcc_lo, 1, v16
	v_cndmask_b32_e32 v14, v18, v14, vcc_lo
	v_cmp_ne_u32_e32 vcc_lo, 0, v10
	v_lshrrev_b32_e32 v18, 8, v11
	s_waitcnt lgkmcnt(0)
	v_lshrrev_b32_e32 v21, 16, v0
	v_cndmask_b32_e64 v10, 0, 1, vcc_lo
	v_cmp_eq_u32_e32 vcc_lo, 0x40f, v19
	v_sub_nc_u32_e32 v19, 0x3f1, v20
	v_mul_f64 v[2:3], v[2:3], s[18:19]
	s_waitcnt vmcnt(2)
	v_mul_f16_sdwa v23, v21, v4 dst_sel:DWORD dst_unused:UNUSED_PAD src0_sel:DWORD src1_sel:WORD_1
	v_and_or_b32 v10, 0xffe, v18, v10
	v_cndmask_b32_e32 v15, v15, v17, vcc_lo
	v_and_b32_e32 v17, 7, v14
	v_lshrrev_b32_e32 v14, 2, v14
	v_lshrrev_b32_e32 v18, 16, v35
	v_or_b32_e32 v22, 0x1000, v10
	v_med3_i32 v19, v19, 0, 13
	v_cmp_lt_i32_e32 vcc_lo, 5, v17
	v_cmp_eq_u32_e64 s0, 3, v17
	v_and_or_b32 v17, 0x8000, v18, v15
	v_fmac_f16_e32 v23, v0, v4
	v_lshrrev_b32_e32 v18, v19, v22
	v_add_nc_u32_e32 v20, 0xfffffc10, v20
	s_or_b32 vcc_lo, s0, vcc_lo
	v_and_b32_e32 v17, 0xffff, v17
	v_add_co_ci_u32_e32 v14, vcc_lo, 0, v14, vcc_lo
	v_cmp_ne_u32_e32 vcc_lo, 0, v8
	v_lshlrev_b32_e32 v19, v19, v18
	v_cvt_f32_f16_e32 v15, v23
	v_and_or_b32 v2, 0x1ff, v3, v2
	v_mul_f16_sdwa v0, v0, v4 dst_sel:DWORD dst_unused:UNUSED_PAD src0_sel:DWORD src1_sel:WORD_1
	v_cndmask_b32_e64 v8, 0, 1, vcc_lo
	v_cmp_gt_i32_e32 vcc_lo, 31, v16
	v_fma_f16 v0, v4, v21, -v0
	v_lshl_or_b32 v8, v8, 9, 0x7c00
	v_cndmask_b32_e32 v23, 0x7c00, v14, vcc_lo
	v_cmp_ne_u32_e32 vcc_lo, v19, v22
	v_cvt_f64_f32_e32 v[14:15], v15
	v_bfe_u32 v22, v3, 20, 11
	v_cvt_f32_f16_e32 v0, v0
	v_cndmask_b32_e64 v19, 0, 1, vcc_lo
	v_cmp_eq_u32_e32 vcc_lo, 0x40f, v16
	v_or_b32_e32 v16, v18, v19
	v_cndmask_b32_e32 v8, v23, v8, vcc_lo
	v_cmp_ne_u32_e32 vcc_lo, 0, v2
	v_lshrrev_b32_e32 v19, 8, v3
	v_lshl_or_b32 v18, v20, 12, v10
	v_cndmask_b32_e64 v2, 0, 1, vcc_lo
	v_cmp_gt_i32_e32 vcc_lo, 1, v20
	v_and_or_b32 v2, 0xffe, v19, v2
	v_sub_nc_u32_e32 v19, 0x3f1, v22
	v_cndmask_b32_e32 v16, v18, v16, vcc_lo
	v_and_or_b32 v18, 0x8000, v9, v8
	v_mul_f64 v[8:9], v[14:15], s[18:19]
	v_or_b32_e32 v24, 0x1000, v2
	v_med3_i32 v14, v19, 0, 13
	v_and_b32_e32 v23, 7, v16
	v_lshl_or_b32 v17, v18, 16, v17
	v_lshrrev_b32_e32 v4, 2, v16
	v_lshrrev_b32_e32 v18, v14, v24
	v_cmp_lt_i32_e32 vcc_lo, 5, v23
	v_cmp_eq_u32_e64 s0, 3, v23
	v_lshlrev_b32_e32 v14, v14, v18
	s_or_b32 vcc_lo, s0, vcc_lo
	v_add_co_ci_u32_e32 v4, vcc_lo, 0, v4, vcc_lo
	v_cmp_ne_u32_e32 vcc_lo, v14, v24
	v_cvt_f64_f32_e32 v[14:15], v0
	v_add_nc_u32_e32 v0, 0xfffffc10, v22
	v_and_or_b32 v8, 0x1ff, v9, v8
	v_cndmask_b32_e64 v16, 0, 1, vcc_lo
	v_cmp_gt_i32_e32 vcc_lo, 31, v20
	v_lshrrev_b32_e32 v19, 8, v9
	v_bfe_u32 v21, v9, 20, 11
	v_lshrrev_b32_e32 v9, 16, v9
	v_or_b32_e32 v16, v18, v16
	v_cndmask_b32_e32 v4, 0x7c00, v4, vcc_lo
	v_cmp_ne_u32_e32 vcc_lo, 0, v8
	v_lshl_or_b32 v18, v0, 12, v2
	v_cndmask_b32_e64 v8, 0, 1, vcc_lo
	v_cmp_ne_u32_e32 vcc_lo, 0, v10
	v_and_or_b32 v8, 0xffe, v19, v8
	v_cndmask_b32_e64 v10, 0, 1, vcc_lo
	v_cmp_gt_i32_e32 vcc_lo, 1, v0
	v_lshrrev_b32_e32 v19, 16, v1
	v_mul_f64 v[14:15], v[14:15], s[18:19]
	v_or_b32_e32 v23, 0x1000, v8
	v_lshl_or_b32 v10, v10, 9, 0x7c00
	v_cndmask_b32_e32 v16, v18, v16, vcc_lo
	v_sub_nc_u32_e32 v18, 0x3f1, v21
	v_cmp_eq_u32_e32 vcc_lo, 0x40f, v20
	s_waitcnt vmcnt(1)
	v_mul_f16_sdwa v24, v19, v7 dst_sel:DWORD dst_unused:UNUSED_PAD src0_sel:DWORD src1_sel:WORD_1
	v_add_nc_u32_e32 v21, 0xfffffc10, v21
	v_and_b32_e32 v22, 7, v16
	v_med3_i32 v18, v18, 0, 13
	v_cndmask_b32_e32 v4, v4, v10, vcc_lo
	v_lshrrev_b32_e32 v10, 16, v11
	v_fmac_f16_e32 v24, v1, v7
	v_cmp_lt_i32_e32 vcc_lo, 5, v22
	v_lshrrev_b32_e32 v20, v18, v23
	v_cmp_eq_u32_e64 s0, 3, v22
	v_and_or_b32 v4, 0x8000, v10, v4
	v_lshrrev_b32_e32 v10, 2, v16
	v_cvt_f32_f16_e32 v16, v24
	v_lshlrev_b32_e32 v11, v18, v20
	s_or_b32 vcc_lo, s0, vcc_lo
	v_and_b32_e32 v4, 0xffff, v4
	v_add_co_ci_u32_e32 v18, vcc_lo, 0, v10, vcc_lo
	v_cmp_ne_u32_e32 vcc_lo, v11, v23
	v_cvt_f64_f32_e32 v[10:11], v16
	v_and_or_b32 v14, 0x1ff, v15, v14
	v_mul_f16_sdwa v1, v1, v7 dst_sel:DWORD dst_unused:UNUSED_PAD src0_sel:DWORD src1_sel:WORD_1
	v_cndmask_b32_e64 v22, 0, 1, vcc_lo
	v_cmp_ne_u32_e32 vcc_lo, 0, v2
	v_fma_f16 v1, v7, v19, -v1
	v_lshrrev_b32_e32 v19, 16, v5
	v_or_b32_e32 v16, v20, v22
	v_cndmask_b32_e64 v2, 0, 1, vcc_lo
	v_cmp_gt_i32_e32 vcc_lo, 31, v0
	v_lshl_or_b32 v20, v21, 12, v8
	v_bfe_u32 v22, v15, 20, 11
	v_lshl_or_b32 v2, v2, 9, 0x7c00
	v_cndmask_b32_e32 v18, 0x7c00, v18, vcc_lo
	v_cmp_gt_i32_e32 vcc_lo, 1, v21
	v_cndmask_b32_e32 v16, v20, v16, vcc_lo
	v_cmp_ne_u32_e32 vcc_lo, 0, v14
	v_lshrrev_b32_e32 v20, 8, v15
	v_and_b32_e32 v23, 7, v16
	v_cndmask_b32_e64 v14, 0, 1, vcc_lo
	v_cmp_eq_u32_e32 vcc_lo, 0x40f, v0
	v_lshrrev_b32_e32 v16, 2, v16
	v_cmp_eq_u32_e64 s0, 3, v23
	v_and_or_b32 v14, 0xffe, v20, v14
	v_cndmask_b32_e32 v0, v18, v2, vcc_lo
	v_sub_nc_u32_e32 v18, 0x3f1, v22
	v_cmp_lt_i32_e32 vcc_lo, 5, v23
	v_lshrrev_b32_e32 v20, 16, v3
	v_mul_f64 v[2:3], v[10:11], s[18:19]
	v_or_b32_e32 v10, 0x1000, v14
	v_med3_i32 v11, v18, 0, 13
	s_or_b32 vcc_lo, s0, vcc_lo
	v_and_or_b32 v0, 0x8000, v20, v0
	v_add_co_ci_u32_e32 v16, vcc_lo, 0, v16, vcc_lo
	v_lshrrev_b32_e32 v18, v11, v10
	v_cmp_ne_u32_e32 vcc_lo, 0, v8
	v_lshl_or_b32 v20, v0, 16, v4
	s_waitcnt vmcnt(0)
	v_mul_f16_sdwa v23, v19, v6 dst_sel:DWORD dst_unused:UNUSED_PAD src0_sel:DWORD src1_sel:WORD_1
	v_lshlrev_b32_e32 v0, v11, v18
	v_cndmask_b32_e64 v8, 0, 1, vcc_lo
	v_cmp_gt_i32_e32 vcc_lo, 31, v21
	v_add_nc_u32_e32 v11, 0xfffffc10, v22
	v_fmac_f16_e32 v23, v5, v6
	v_mul_f16_sdwa v5, v5, v6 dst_sel:DWORD dst_unused:UNUSED_PAD src0_sel:DWORD src1_sel:WORD_1
	v_lshl_or_b32 v8, v8, 9, 0x7c00
	v_cndmask_b32_e32 v4, 0x7c00, v16, vcc_lo
	v_cmp_ne_u32_e32 vcc_lo, v0, v10
	v_and_or_b32 v2, 0x1ff, v3, v2
	v_lshrrev_b32_e32 v10, 8, v3
	v_bfe_u32 v16, v3, 20, 11
	v_cndmask_b32_e64 v0, 0, 1, vcc_lo
	v_cmp_eq_u32_e32 vcc_lo, 0x40f, v21
	v_fma_f16 v5, v6, v19, -v5
	v_lshrrev_b32_e32 v3, 16, v3
	v_or_b32_e32 v7, v18, v0
	v_cndmask_b32_e32 v4, v4, v8, vcc_lo
	v_cmp_ne_u32_e32 vcc_lo, 0, v2
	v_cvt_f32_f16_e32 v0, v1
	v_lshl_or_b32 v8, v11, 12, v14
	v_and_or_b32 v24, 0x8000, v9, v4
	v_cndmask_b32_e64 v2, 0, 1, vcc_lo
	v_cmp_gt_i32_e32 vcc_lo, 1, v11
	v_cvt_f64_f32_e32 v[0:1], v0
	v_and_or_b32 v2, 0xffe, v10, v2
	v_cndmask_b32_e32 v18, v8, v7, vcc_lo
	v_sub_nc_u32_e32 v7, 0x3f1, v16
	v_add_nc_u32_e32 v16, 0xfffffc10, v16
	v_or_b32_e32 v21, 0x1000, v2
	v_and_b32_e32 v10, 7, v18
	v_med3_i32 v22, v7, 0, 13
	v_add_co_u32 v7, vcc_lo, v12, s17
	v_add_co_ci_u32_e32 v8, vcc_lo, s20, v13, vcc_lo
	v_lshrrev_b32_e32 v4, v22, v21
	v_cmp_lt_i32_e32 vcc_lo, 5, v10
	v_cmp_eq_u32_e64 s0, 3, v10
	v_lshrrev_b32_e32 v9, 2, v18
	v_cvt_f32_f16_e32 v10, v23
	v_lshlrev_b32_e32 v18, v22, v4
	s_or_b32 vcc_lo, s0, vcc_lo
	v_mul_f64 v[0:1], v[0:1], s[18:19]
	v_add_co_ci_u32_e32 v22, vcc_lo, 0, v9, vcc_lo
	v_cmp_ne_u32_e32 vcc_lo, v18, v21
	v_cvt_f64_f32_e32 v[9:10], v10
	v_cndmask_b32_e64 v18, 0, 1, vcc_lo
	v_cmp_ne_u32_e32 vcc_lo, 0, v14
	v_or_b32_e32 v4, v4, v18
	v_cndmask_b32_e64 v14, 0, 1, vcc_lo
	v_cmp_gt_i32_e32 vcc_lo, 31, v11
	v_lshl_or_b32 v18, v16, 12, v2
	v_lshl_or_b32 v14, v14, 9, 0x7c00
	v_cndmask_b32_e32 v6, 0x7c00, v22, vcc_lo
	v_cmp_gt_i32_e32 vcc_lo, 1, v16
	v_and_or_b32 v0, 0x1ff, v1, v0
	v_bfe_u32 v19, v1, 20, 11
	v_cndmask_b32_e32 v18, v18, v4, vcc_lo
	v_cvt_f32_f16_e32 v4, v5
	v_cmp_eq_u32_e32 vcc_lo, 0x40f, v11
	v_mul_f64 v[9:10], v[9:10], s[18:19]
	v_lshrrev_b32_e32 v11, 16, v15
	v_lshrrev_b32_e32 v15, 8, v1
	v_cvt_f64_f32_e32 v[4:5], v4
	v_cndmask_b32_e32 v6, v6, v14, vcc_lo
	v_cmp_ne_u32_e32 vcc_lo, 0, v0
	v_and_b32_e32 v14, 7, v18
	v_lshrrev_b32_e32 v1, 16, v1
	v_and_or_b32 v6, 0x8000, v11, v6
	v_and_b32_e32 v11, 0xffff, v24
	v_cndmask_b32_e64 v0, 0, 1, vcc_lo
	v_cmp_lt_i32_e32 vcc_lo, 5, v14
	v_cmp_eq_u32_e64 s0, 3, v14
	v_lshl_or_b32 v6, v6, 16, v11
	v_lshrrev_b32_e32 v11, 2, v18
	v_and_or_b32 v0, 0xffe, v15, v0
	v_sub_nc_u32_e32 v15, 0x3f1, v19
	s_or_b32 vcc_lo, s0, vcc_lo
	v_add_co_ci_u32_e32 v11, vcc_lo, 0, v11, vcc_lo
	v_or_b32_e32 v14, 0x1000, v0
	v_med3_i32 v15, v15, 0, 13
	v_cmp_ne_u32_e32 vcc_lo, 0, v2
	v_and_or_b32 v9, 0x1ff, v10, v9
	v_mul_f64 v[4:5], v[4:5], s[18:19]
	v_lshrrev_b32_e32 v21, 8, v10
	v_lshrrev_b32_e32 v18, v15, v14
	v_cndmask_b32_e64 v2, 0, 1, vcc_lo
	v_cmp_gt_i32_e32 vcc_lo, 31, v16
	v_bfe_u32 v22, v10, 20, 11
	v_lshrrev_b32_e32 v10, 16, v10
	v_lshlrev_b32_e32 v15, v15, v18
	v_lshl_or_b32 v2, v2, 9, 0x7c00
	v_cndmask_b32_e32 v11, 0x7c00, v11, vcc_lo
	v_cmp_ne_u32_e32 vcc_lo, 0, v9
	v_cndmask_b32_e64 v9, 0, 1, vcc_lo
	v_cmp_ne_u32_e32 vcc_lo, v15, v14
	v_add_nc_u32_e32 v15, 0xfffffc10, v19
	v_sub_nc_u32_e32 v19, 0x3f1, v22
	v_and_or_b32 v9, 0xffe, v21, v9
	v_cndmask_b32_e64 v14, 0, 1, vcc_lo
	v_cmp_eq_u32_e32 vcc_lo, 0x40f, v16
	v_and_or_b32 v4, 0x1ff, v5, v4
	v_bfe_u32 v21, v5, 20, 11
	v_or_b32_e32 v16, 0x1000, v9
	v_cndmask_b32_e32 v2, v11, v2, vcc_lo
	v_or_b32_e32 v11, v18, v14
	v_lshl_or_b32 v14, v15, 12, v0
	v_med3_i32 v18, v19, 0, 13
	v_cmp_gt_i32_e32 vcc_lo, 1, v15
	v_lshrrev_b32_e32 v19, 8, v5
	v_and_or_b32 v2, 0x8000, v3, v2
	v_cndmask_b32_e32 v11, v14, v11, vcc_lo
	v_lshrrev_b32_e32 v14, v18, v16
	v_cmp_ne_u32_e32 vcc_lo, 0, v4
	v_and_b32_e32 v2, 0xffff, v2
	v_and_b32_e32 v23, 7, v11
	v_lshlrev_b32_e32 v18, v18, v14
	v_cndmask_b32_e64 v4, 0, 1, vcc_lo
	v_lshrrev_b32_e32 v11, 2, v11
	v_cmp_lt_i32_e32 vcc_lo, 5, v23
	v_cmp_ne_u32_e64 s0, v18, v16
	v_and_or_b32 v3, 0xffe, v19, v4
	v_sub_nc_u32_e32 v4, 0x3f1, v21
	v_add_nc_u32_e32 v19, 0xfffffc10, v22
	v_cndmask_b32_e64 v16, 0, 1, s0
	v_cmp_eq_u32_e64 s0, 3, v23
	v_or_b32_e32 v18, 0x1000, v3
	v_med3_i32 v4, v4, 0, 13
	v_lshl_or_b32 v22, v19, 12, v9
	v_or_b32_e32 v14, v14, v16
	s_or_b32 vcc_lo, s0, vcc_lo
	v_add_co_ci_u32_e32 v11, vcc_lo, 0, v11, vcc_lo
	v_lshrrev_b32_e32 v16, v4, v18
	v_cmp_gt_i32_e32 vcc_lo, 1, v19
	v_lshlrev_b32_e32 v4, v4, v16
	v_cndmask_b32_e32 v14, v22, v14, vcc_lo
	v_cmp_ne_u32_e32 vcc_lo, 0, v0
	v_cndmask_b32_e64 v0, 0, 1, vcc_lo
	v_cmp_ne_u32_e32 vcc_lo, v4, v18
	v_add_nc_u32_e32 v18, 0xfffffc10, v21
	v_and_b32_e32 v21, 7, v14
	v_lshl_or_b32 v0, v0, 9, 0x7c00
	v_cndmask_b32_e64 v4, 0, 1, vcc_lo
	v_cmp_gt_i32_e32 vcc_lo, 31, v15
	v_cmp_gt_i32_e64 s1, 1, v18
	v_cmp_eq_u32_e64 s0, 3, v21
	v_or_b32_e32 v4, v16, v4
	v_lshl_or_b32 v16, v18, 12, v3
	v_cndmask_b32_e32 v11, 0x7c00, v11, vcc_lo
	v_cmp_lt_i32_e32 vcc_lo, 5, v21
	v_cndmask_b32_e64 v4, v16, v4, s1
	v_cmp_eq_u32_e64 s1, 0x40f, v15
	s_or_b32 vcc_lo, s0, vcc_lo
	v_cndmask_b32_e64 v0, v11, v0, s1
	v_lshrrev_b32_e32 v11, 2, v14
	v_and_b32_e32 v14, 7, v4
	v_lshrrev_b32_e32 v4, 2, v4
	v_cmp_gt_i32_e64 s1, 31, v19
	v_add_co_ci_u32_e32 v11, vcc_lo, 0, v11, vcc_lo
	v_cmp_ne_u32_e32 vcc_lo, 0, v9
	v_cmp_eq_u32_e64 s0, 3, v14
	v_cndmask_b32_e64 v11, 0x7c00, v11, s1
	v_cndmask_b32_e64 v9, 0, 1, vcc_lo
	v_cmp_lt_i32_e32 vcc_lo, 5, v14
	v_lshl_or_b32 v9, v9, 9, 0x7c00
	s_or_b32 vcc_lo, s0, vcc_lo
	v_add_co_ci_u32_e32 v4, vcc_lo, 0, v4, vcc_lo
	v_cmp_ne_u32_e32 vcc_lo, 0, v3
	v_cndmask_b32_e64 v3, 0, 1, vcc_lo
	v_cmp_eq_u32_e32 vcc_lo, 0x40f, v19
	v_lshl_or_b32 v3, v3, 9, 0x7c00
	v_cndmask_b32_e32 v9, v11, v9, vcc_lo
	v_cmp_gt_i32_e32 vcc_lo, 31, v18
	v_and_or_b32 v11, 0x8000, v1, v0
	v_and_or_b32 v9, 0x8000, v10, v9
	v_cndmask_b32_e32 v4, 0x7c00, v4, vcc_lo
	v_cmp_eq_u32_e32 vcc_lo, 0x40f, v18
	v_lshl_or_b32 v10, v11, 16, v2
	v_cndmask_b32_e32 v3, v4, v3, vcc_lo
	v_lshrrev_b32_e32 v4, 16, v5
	v_add_co_u32 v0, vcc_lo, v7, s17
	v_add_co_ci_u32_e32 v1, vcc_lo, s20, v8, vcc_lo
	v_and_or_b32 v4, 0x8000, v4, v3
	v_and_b32_e32 v5, 0xffff, v9
	v_add_co_u32 v2, vcc_lo, v0, s17
	v_add_co_ci_u32_e32 v3, vcc_lo, s20, v1, vcc_lo
	v_lshl_or_b32 v9, v4, 16, v5
	v_add_co_u32 v4, vcc_lo, v2, s17
	v_add_co_ci_u32_e32 v5, vcc_lo, s20, v3, vcc_lo
	global_store_dword v[12:13], v17, off
	global_store_dword v[7:8], v20, off
	;; [unrolled: 1-line block ×5, first 2 shown]
.LBB0_23:
	s_endpgm
	.section	.rodata,"a",@progbits
	.p2align	6, 0x0
	.amdhsa_kernel bluestein_single_back_len720_dim1_half_op_CI_CI
		.amdhsa_group_segment_fixed_size 5760
		.amdhsa_private_segment_fixed_size 0
		.amdhsa_kernarg_size 104
		.amdhsa_user_sgpr_count 6
		.amdhsa_user_sgpr_private_segment_buffer 1
		.amdhsa_user_sgpr_dispatch_ptr 0
		.amdhsa_user_sgpr_queue_ptr 0
		.amdhsa_user_sgpr_kernarg_segment_ptr 1
		.amdhsa_user_sgpr_dispatch_id 0
		.amdhsa_user_sgpr_flat_scratch_init 0
		.amdhsa_user_sgpr_private_segment_size 0
		.amdhsa_wavefront_size32 1
		.amdhsa_uses_dynamic_stack 0
		.amdhsa_system_sgpr_private_segment_wavefront_offset 0
		.amdhsa_system_sgpr_workgroup_id_x 1
		.amdhsa_system_sgpr_workgroup_id_y 0
		.amdhsa_system_sgpr_workgroup_id_z 0
		.amdhsa_system_sgpr_workgroup_info 0
		.amdhsa_system_vgpr_workitem_id 0
		.amdhsa_next_free_vgpr 100
		.amdhsa_next_free_sgpr 21
		.amdhsa_reserve_vcc 1
		.amdhsa_reserve_flat_scratch 0
		.amdhsa_float_round_mode_32 0
		.amdhsa_float_round_mode_16_64 0
		.amdhsa_float_denorm_mode_32 3
		.amdhsa_float_denorm_mode_16_64 3
		.amdhsa_dx10_clamp 1
		.amdhsa_ieee_mode 1
		.amdhsa_fp16_overflow 0
		.amdhsa_workgroup_processor_mode 1
		.amdhsa_memory_ordered 1
		.amdhsa_forward_progress 0
		.amdhsa_shared_vgpr_count 0
		.amdhsa_exception_fp_ieee_invalid_op 0
		.amdhsa_exception_fp_denorm_src 0
		.amdhsa_exception_fp_ieee_div_zero 0
		.amdhsa_exception_fp_ieee_overflow 0
		.amdhsa_exception_fp_ieee_underflow 0
		.amdhsa_exception_fp_ieee_inexact 0
		.amdhsa_exception_int_div_zero 0
	.end_amdhsa_kernel
	.text
.Lfunc_end0:
	.size	bluestein_single_back_len720_dim1_half_op_CI_CI, .Lfunc_end0-bluestein_single_back_len720_dim1_half_op_CI_CI
                                        ; -- End function
	.section	.AMDGPU.csdata,"",@progbits
; Kernel info:
; codeLenInByte = 13876
; NumSgprs: 23
; NumVgprs: 100
; ScratchSize: 0
; MemoryBound: 0
; FloatMode: 240
; IeeeMode: 1
; LDSByteSize: 5760 bytes/workgroup (compile time only)
; SGPRBlocks: 2
; VGPRBlocks: 12
; NumSGPRsForWavesPerEU: 23
; NumVGPRsForWavesPerEU: 100
; Occupancy: 9
; WaveLimiterHint : 1
; COMPUTE_PGM_RSRC2:SCRATCH_EN: 0
; COMPUTE_PGM_RSRC2:USER_SGPR: 6
; COMPUTE_PGM_RSRC2:TRAP_HANDLER: 0
; COMPUTE_PGM_RSRC2:TGID_X_EN: 1
; COMPUTE_PGM_RSRC2:TGID_Y_EN: 0
; COMPUTE_PGM_RSRC2:TGID_Z_EN: 0
; COMPUTE_PGM_RSRC2:TIDIG_COMP_CNT: 0
	.text
	.p2alignl 6, 3214868480
	.fill 48, 4, 3214868480
	.type	__hip_cuid_317b66a97a99d108,@object ; @__hip_cuid_317b66a97a99d108
	.section	.bss,"aw",@nobits
	.globl	__hip_cuid_317b66a97a99d108
__hip_cuid_317b66a97a99d108:
	.byte	0                               ; 0x0
	.size	__hip_cuid_317b66a97a99d108, 1

	.ident	"AMD clang version 19.0.0git (https://github.com/RadeonOpenCompute/llvm-project roc-6.4.0 25133 c7fe45cf4b819c5991fe208aaa96edf142730f1d)"
	.section	".note.GNU-stack","",@progbits
	.addrsig
	.addrsig_sym __hip_cuid_317b66a97a99d108
	.amdgpu_metadata
---
amdhsa.kernels:
  - .args:
      - .actual_access:  read_only
        .address_space:  global
        .offset:         0
        .size:           8
        .value_kind:     global_buffer
      - .actual_access:  read_only
        .address_space:  global
        .offset:         8
        .size:           8
        .value_kind:     global_buffer
      - .actual_access:  read_only
        .address_space:  global
        .offset:         16
        .size:           8
        .value_kind:     global_buffer
      - .actual_access:  read_only
        .address_space:  global
        .offset:         24
        .size:           8
        .value_kind:     global_buffer
      - .actual_access:  read_only
        .address_space:  global
        .offset:         32
        .size:           8
        .value_kind:     global_buffer
      - .offset:         40
        .size:           8
        .value_kind:     by_value
      - .address_space:  global
        .offset:         48
        .size:           8
        .value_kind:     global_buffer
      - .address_space:  global
        .offset:         56
        .size:           8
        .value_kind:     global_buffer
      - .address_space:  global
        .offset:         64
        .size:           8
        .value_kind:     global_buffer
      - .address_space:  global
        .offset:         72
        .size:           8
        .value_kind:     global_buffer
      - .offset:         80
        .size:           4
        .value_kind:     by_value
      - .address_space:  global
        .offset:         88
        .size:           8
        .value_kind:     global_buffer
      - .address_space:  global
        .offset:         96
        .size:           8
        .value_kind:     global_buffer
    .group_segment_fixed_size: 5760
    .kernarg_segment_align: 8
    .kernarg_segment_size: 104
    .language:       OpenCL C
    .language_version:
      - 2
      - 0
    .max_flat_workgroup_size: 240
    .name:           bluestein_single_back_len720_dim1_half_op_CI_CI
    .private_segment_fixed_size: 0
    .sgpr_count:     23
    .sgpr_spill_count: 0
    .symbol:         bluestein_single_back_len720_dim1_half_op_CI_CI.kd
    .uniform_work_group_size: 1
    .uses_dynamic_stack: false
    .vgpr_count:     100
    .vgpr_spill_count: 0
    .wavefront_size: 32
    .workgroup_processor_mode: 1
amdhsa.target:   amdgcn-amd-amdhsa--gfx1030
amdhsa.version:
  - 1
  - 2
...

	.end_amdgpu_metadata
